;; amdgpu-corpus repo=ROCm/rocFFT kind=compiled arch=gfx1201 opt=O3
	.text
	.amdgcn_target "amdgcn-amd-amdhsa--gfx1201"
	.amdhsa_code_object_version 6
	.protected	bluestein_single_fwd_len2304_dim1_sp_op_CI_CI ; -- Begin function bluestein_single_fwd_len2304_dim1_sp_op_CI_CI
	.globl	bluestein_single_fwd_len2304_dim1_sp_op_CI_CI
	.p2align	8
	.type	bluestein_single_fwd_len2304_dim1_sp_op_CI_CI,@function
bluestein_single_fwd_len2304_dim1_sp_op_CI_CI: ; @bluestein_single_fwd_len2304_dim1_sp_op_CI_CI
; %bb.0:
	s_load_b128 s[12:15], s[0:1], 0x28
	v_mul_u32_u24_e32 v1, 0x156, v0
	s_mov_b32 s2, exec_lo
	v_mov_b32_e32 v77, 0
	s_delay_alu instid0(VALU_DEP_2) | instskip(NEXT) | instid1(VALU_DEP_1)
	v_lshrrev_b32_e32 v1, 16, v1
	v_add_nc_u32_e32 v76, ttmp9, v1
	s_wait_kmcnt 0x0
	s_delay_alu instid0(VALU_DEP_1)
	v_cmpx_gt_u64_e64 s[12:13], v[76:77]
	s_cbranch_execz .LBB0_2
; %bb.1:
	s_clause 0x1
	s_load_b128 s[4:7], s[0:1], 0x18
	s_load_b128 s[8:11], s[0:1], 0x0
	v_mul_lo_u16 v1, 0xc0, v1
	s_load_b64 s[0:1], s[0:1], 0x38
	s_delay_alu instid0(VALU_DEP_1) | instskip(NEXT) | instid1(VALU_DEP_1)
	v_sub_nc_u16 v12, v0, v1
	v_and_b32_e32 v102, 0xffff, v12
	v_mul_lo_u16 v29, v12, 6
	s_delay_alu instid0(VALU_DEP_1) | instskip(SKIP_2) | instid1(VALU_DEP_1)
	v_and_b32_e32 v34, 0xffff, v29
	s_wait_kmcnt 0x0
	s_load_b128 s[16:19], s[4:5], 0x0
	v_lshlrev_b32_e32 v112, 3, v34
	s_wait_kmcnt 0x0
	v_mad_co_u64_u32 v[0:1], null, s18, v76, 0
	v_mad_co_u64_u32 v[2:3], null, s16, v102, 0
	s_mul_u64 s[2:3], s[16:17], 0xc00
	s_mul_i32 s4, s17, 0x1800
	s_delay_alu instid0(VALU_DEP_1) | instskip(NEXT) | instid1(VALU_DEP_1)
	v_mad_co_u64_u32 v[4:5], null, s19, v76, v[1:2]
	v_mov_b32_e32 v1, v4
	s_delay_alu instid0(VALU_DEP_3) | instskip(SKIP_2) | instid1(VALU_DEP_4)
	v_mad_co_u64_u32 v[5:6], null, s17, v102, v[3:4]
	v_or_b32_e32 v100, 0x300, v102
	v_or_b32_e32 v99, 0x600, v102
	v_lshlrev_b64_e32 v[0:1], 3, v[0:1]
	s_delay_alu instid0(VALU_DEP_3) | instskip(SKIP_1) | instid1(VALU_DEP_4)
	v_mad_co_u64_u32 v[6:7], null, s16, v100, 0
	v_mov_b32_e32 v3, v5
	v_mad_co_u64_u32 v[4:5], null, s16, v99, 0
	s_delay_alu instid0(VALU_DEP_4) | instskip(NEXT) | instid1(VALU_DEP_3)
	v_add_co_u32 v16, vcc_lo, s14, v0
	v_lshlrev_b64_e32 v[2:3], 3, v[2:3]
	v_add_co_ci_u32_e32 v17, vcc_lo, s15, v1, vcc_lo
	v_dual_mov_b32 v0, v7 :: v_dual_lshlrev_b32 v101, 3, v102
	s_delay_alu instid0(VALU_DEP_3) | instskip(SKIP_1) | instid1(VALU_DEP_3)
	v_add_co_u32 v1, vcc_lo, v16, v2
	s_wait_alu 0xfffd
	v_add_co_ci_u32_e32 v2, vcc_lo, v17, v3, vcc_lo
	v_mov_b32_e32 v3, v5
	s_delay_alu instid0(VALU_DEP_3)
	v_mad_co_u64_u32 v[10:11], null, s17, v100, v[0:1]
	s_clause 0x2
	global_load_b64 v[52:53], v101, s[8:9]
	global_load_b64 v[54:55], v101, s[8:9] offset:6144
	global_load_b64 v[56:57], v101, s[8:9] offset:12288
	v_mad_co_u64_u32 v[13:14], null, s17, v99, v[3:4]
	v_add_co_u32 v8, vcc_lo, v1, s2
	v_mov_b32_e32 v7, v10
	s_wait_alu 0xfffd
	v_add_co_ci_u32_e32 v9, vcc_lo, s3, v2, vcc_lo
	global_load_b64 v[1:2], v[1:2], off
	v_mov_b32_e32 v5, v13
	v_lshlrev_b64_e32 v[6:7], 3, v[6:7]
	v_mad_co_u64_u32 v[14:15], null, 0x1800, s16, v[8:9]
	v_add_co_u32 v13, null, 0xc0, v102
	s_delay_alu instid0(VALU_DEP_4) | instskip(NEXT) | instid1(VALU_DEP_4)
	v_lshlrev_b64_e32 v[3:4], 3, v[4:5]
	v_add_co_u32 v5, vcc_lo, v16, v6
	s_wait_alu 0xfffd
	v_add_co_ci_u32_e32 v6, vcc_lo, v17, v7, vcc_lo
	v_add_nc_u32_e32 v15, s4, v15
	s_delay_alu instid0(VALU_DEP_4)
	v_add_co_u32 v3, vcc_lo, v16, v3
	s_wait_alu 0xfffd
	v_add_co_ci_u32_e32 v4, vcc_lo, v17, v4, vcc_lo
	global_load_b64 v[5:6], v[5:6], off
	global_load_b64 v[58:59], v101, s[8:9] offset:15360
	s_clause 0x1
	global_load_b64 v[3:4], v[3:4], off
	global_load_b64 v[7:8], v[8:9], off
	v_mad_co_u64_u32 v[10:11], null, 0x1800, s16, v[14:15]
	s_clause 0x2
	global_load_b64 v[60:61], v101, s[8:9] offset:3072
	global_load_b64 v[62:63], v101, s[8:9] offset:4608
	;; [unrolled: 1-line block ×3, first 2 shown]
	global_load_b64 v[14:15], v[14:15], off
	s_clause 0x1
	global_load_b64 v[68:69], v101, s[8:9] offset:9216
	global_load_b64 v[66:67], v101, s[8:9] offset:10752
	v_and_b32_e32 v36, 0xffff, v13
	v_add_nc_u32_e32 v11, s4, v11
	s_mul_i32 s4, s17, 0xffffca00
	s_delay_alu instid0(VALU_DEP_2)
	v_mul_u32_u24_e32 v28, 0xaaab, v36
	s_wait_alu 0xfffe
	s_sub_co_i32 s4, s4, s16
	v_mad_co_u64_u32 v[16:17], null, 0xffffca00, s16, v[10:11]
	global_load_b64 v[9:10], v[10:11], off
	s_wait_alu 0xfffe
	v_add_nc_u32_e32 v17, s4, v17
	v_add_co_u32 v18, vcc_lo, v16, s2
	s_wait_loadcnt 0xa
	v_mul_f32_e32 v30, v6, v55
	s_wait_alu 0xfffd
	v_add_co_ci_u32_e32 v19, vcc_lo, s3, v17, vcc_lo
	v_add_co_u32 v20, vcc_lo, v18, s2
	global_load_b64 v[16:17], v[16:17], off
	global_load_b64 v[70:71], v101, s[8:9] offset:7680
	s_wait_alu 0xfffd
	v_add_co_ci_u32_e32 v21, vcc_lo, s3, v19, vcc_lo
	v_add_co_u32 v22, vcc_lo, v20, s2
	global_load_b64 v[18:19], v[18:19], off
	s_wait_alu 0xfffd
	v_add_co_ci_u32_e32 v23, vcc_lo, s3, v21, vcc_lo
	v_add_co_u32 v24, vcc_lo, v22, s2
	global_load_b64 v[20:21], v[20:21], off
	;; [unrolled: 4-line block ×3, first 2 shown]
	s_wait_alu 0xfffd
	v_add_co_ci_u32_e32 v27, vcc_lo, s3, v25, vcc_lo
	s_clause 0x1
	global_load_b64 v[72:73], v101, s[8:9] offset:16896
	global_load_b64 v[74:75], v101, s[8:9] offset:13824
	global_load_b64 v[24:25], v[24:25], off
	global_load_b64 v[26:27], v[26:27], off
	v_dual_fmac_f32 v30, v5, v54 :: v_dual_and_b32 v11, 0xff, v12
	s_wait_loadcnt 0x11
	v_mul_f32_e32 v32, v4, v57
	v_mul_f32_e32 v29, v1, v53
	;; [unrolled: 1-line block ×3, first 2 shown]
	v_mul_lo_u16 v0, 0xab, v11
	v_mul_f32_e32 v33, v3, v57
	v_fmac_f32_e32 v32, v3, v56
	v_fma_f32 v29, v2, v52, -v29
	s_wait_loadcnt 0xb
	v_mul_f32_e32 v5, v14, v69
	v_lshrrev_b16 v37, 10, v0
	v_lshrrev_b32_e32 v0, 18, v28
	v_mul_f32_e32 v28, v2, v53
	v_mul_f32_e32 v2, v7, v61
	;; [unrolled: 1-line block ×3, first 2 shown]
	s_load_b128 s[4:7], s[6:7], 0x0
	v_mul_lo_u16 v38, v0, 6
	v_dual_fmac_f32 v28, v1, v52 :: v_dual_mul_f32 v1, v8, v61
	v_fma_f32 v2, v8, v60, -v2
	v_fmac_f32_e32 v3, v14, v68
	s_delay_alu instid0(VALU_DEP_4)
	v_sub_nc_u16 v38, v13, v38
	v_mul_lo_u16 v35, v37, 6
	v_fmac_f32_e32 v1, v7, v60
	v_cmp_gt_u16_e32 vcc_lo, 0x90, v12
	s_wait_loadcnt 0x8
	v_mul_f32_e32 v8, v16, v65
	v_fma_f32 v31, v6, v54, -v31
	v_mul_f32_e32 v6, v9, v59
	v_fma_f32 v33, v4, v56, -v33
	v_fma_f32 v4, v15, v68, -v5
	v_mul_f32_e32 v7, v17, v65
	ds_store_b64 v101, v[30:31] offset:6144
	ds_store_b64 v101, v[1:2] offset:3072
	v_mul_lo_u16 v30, v38, 40
	v_mul_f32_e32 v5, v10, v59
	v_fma_f32 v6, v10, v58, -v6
	v_fmac_f32_e32 v7, v16, v64
	v_fma_f32 v8, v17, v64, -v8
	s_wait_loadcnt 0x6
	v_mul_f32_e32 v1, v19, v63
	v_dual_fmac_f32 v5, v9, v58 :: v_dual_mul_f32 v2, v18, v63
	s_delay_alu instid0(VALU_DEP_2)
	v_fmac_f32_e32 v1, v18, v62
	s_wait_loadcnt 0x0
	v_mul_f32_e32 v10, v26, v73
	ds_store_b64 v101, v[32:33] offset:12288
	ds_store_b64 v101, v[3:4] offset:9216
	;; [unrolled: 1-line block ×3, first 2 shown]
	v_mul_f32_e32 v3, v21, v71
	v_mul_f32_e32 v4, v20, v71
	;; [unrolled: 1-line block ×4, first 2 shown]
	ds_store_2addr_stride64_b64 v101, v[28:29], v[7:8] offset1:3
	v_mul_f32_e32 v7, v25, v75
	v_dual_mul_f32 v8, v24, v75 :: v_dual_mul_f32 v9, v27, v73
	v_fma_f32 v2, v19, v62, -v2
	v_fmac_f32_e32 v3, v20, v70
	v_fma_f32 v4, v21, v70, -v4
	v_fmac_f32_e32 v5, v22, v66
	;; [unrolled: 2-line block ×4, first 2 shown]
	v_fma_f32 v10, v27, v72, -v10
	ds_store_b64 v101, v[1:2] offset:4608
	ds_store_b64 v101, v[3:4] offset:7680
	;; [unrolled: 1-line block ×5, first 2 shown]
	global_wb scope:SCOPE_SE
	s_wait_dscnt 0x0
	s_wait_kmcnt 0x0
	s_barrier_signal -1
	s_barrier_wait -1
	global_inv scope:SCOPE_SE
	ds_load_2addr_stride64_b64 v[1:4], v101 offset1:3
	ds_load_2addr_stride64_b64 v[5:8], v101 offset0:12 offset1:15
	ds_load_2addr_stride64_b64 v[14:17], v101 offset0:24 offset1:27
	;; [unrolled: 1-line block ×5, first 2 shown]
	v_mul_u32_u24_e32 v9, 6, v13
	v_sub_nc_u16 v10, v12, v35
	v_and_b32_e32 v32, 0xffff, v30
	global_wb scope:SCOPE_SE
	s_wait_dscnt 0x0
	s_barrier_signal -1
	s_barrier_wait -1
	v_and_b32_e32 v39, 0xff, v10
	global_inv scope:SCOPE_SE
	v_add_f32_e32 v30, v1, v5
	v_add_f32_e32 v34, v2, v6
	;; [unrolled: 1-line block ×3, first 2 shown]
	v_dual_add_f32 v42, v19, v23 :: v_dual_add_f32 v31, v5, v14
	v_sub_f32_e32 v45, v8, v17
	v_add_f32_e32 v46, v4, v8
	v_dual_add_f32 v8, v8, v17 :: v_dual_sub_f32 v33, v6, v15
	v_dual_add_f32 v6, v6, v15 :: v_dual_add_f32 v47, v20, v24
	v_add_f32_e32 v50, v21, v25
	v_lshlrev_b32_e32 v111, 3, v9
	v_sub_f32_e32 v5, v5, v14
	v_dual_sub_f32 v41, v23, v27 :: v_dual_add_f32 v48, v24, v28
	v_sub_f32_e32 v24, v24, v28
	v_add_f32_e32 v14, v30, v14
	v_fma_f32 v2, -0.5, v6, v2
	v_fma_f32 v30, -0.5, v40, v18
	v_fmac_f32_e32 v4, -0.5, v8
	v_add_f32_e32 v8, v47, v28
	v_add_f32_e32 v28, v50, v29
	;; [unrolled: 1-line block ×5, first 2 shown]
	v_fma_f32 v1, -0.5, v31, v1
	v_dual_sub_f32 v22, v22, v26 :: v_dual_add_f32 v43, v3, v7
	v_dual_add_f32 v44, v7, v16 :: v_dual_sub_f32 v49, v25, v29
	v_add_f32_e32 v25, v25, v29
	v_fma_f32 v20, -0.5, v48, v20
	v_add_f32_e32 v15, v34, v15
	v_fmamk_f32 v29, v33, 0x3f5db3d7, v1
	v_fmac_f32_e32 v1, 0xbf5db3d7, v33
	v_fmamk_f32 v33, v5, 0xbf5db3d7, v2
	v_fmac_f32_e32 v2, 0x3f5db3d7, v5
	v_add_f32_e32 v26, v35, v26
	v_dual_sub_f32 v7, v7, v16 :: v_dual_fmamk_f32 v34, v41, 0x3f5db3d7, v30
	v_fma_f32 v23, -0.5, v23, v19
	v_fmac_f32_e32 v30, 0xbf5db3d7, v41
	v_fma_f32 v3, -0.5, v44, v3
	v_mad_co_u64_u32 v[9:10], null, v39, 40, s[10:11]
	s_delay_alu instid0(VALU_DEP_4)
	v_fmamk_f32 v35, v22, 0xbf5db3d7, v23
	v_dual_add_f32 v27, v43, v16 :: v_dual_sub_f32 v16, v14, v26
	v_fmamk_f32 v41, v7, 0xbf5db3d7, v4
	v_fmac_f32_e32 v4, 0x3f5db3d7, v7
	v_fmamk_f32 v7, v49, 0x3f5db3d7, v20
	v_dual_fmac_f32 v20, 0xbf5db3d7, v49 :: v_dual_add_f32 v5, v14, v26
	v_add_f32_e32 v6, v15, v18
	v_fmamk_f32 v40, v45, 0x3f5db3d7, v3
	s_delay_alu instid0(VALU_DEP_3) | instskip(SKIP_4) | instid1(VALU_DEP_4)
	v_dual_mul_f32 v44, -0.5, v20 :: v_dual_fmac_f32 v23, 0x3f5db3d7, v22
	v_dual_mul_f32 v22, 0x3f5db3d7, v35 :: v_dual_fmac_f32 v21, -0.5, v25
	v_add_f32_e32 v31, v46, v17
	v_sub_f32_e32 v17, v15, v18
	v_add_f32_e32 v18, v27, v8
	v_fmac_f32_e32 v22, 0.5, v34
	v_fmamk_f32 v14, v24, 0xbf5db3d7, v21
	v_fmac_f32_e32 v21, 0x3f5db3d7, v24
	s_delay_alu instid0(VALU_DEP_2) | instskip(NEXT) | instid1(VALU_DEP_2)
	v_dual_sub_f32 v24, v27, v8 :: v_dual_mul_f32 v43, 0x3f5db3d7, v14
	v_fmac_f32_e32 v44, 0x3f5db3d7, v21
	v_mul_f32_e32 v42, -0.5, v23
	v_sub_f32_e32 v26, v29, v22
	s_delay_alu instid0(VALU_DEP_4) | instskip(NEXT) | instid1(VALU_DEP_3)
	v_dual_mul_f32 v46, -0.5, v21 :: v_dual_fmac_f32 v43, 0.5, v7
	v_dual_fmac_f32 v3, 0xbf5db3d7, v45 :: v_dual_fmac_f32 v42, 0xbf5db3d7, v30
	s_delay_alu instid0(VALU_DEP_2) | instskip(NEXT) | instid1(VALU_DEP_3)
	v_dual_mul_f32 v27, -0.5, v30 :: v_dual_fmac_f32 v46, 0xbf5db3d7, v20
	v_add_f32_e32 v20, v40, v43
	v_mul_f32_e32 v45, 0xbf5db3d7, v7
	s_delay_alu instid0(VALU_DEP_4) | instskip(NEXT) | instid1(VALU_DEP_4)
	v_dual_add_f32 v7, v29, v22 :: v_dual_add_f32 v22, v3, v44
	v_fmac_f32_e32 v27, 0x3f5db3d7, v23
	v_add_f32_e32 v19, v31, v28
	v_add_f32_e32 v23, v4, v46
	v_sub_f32_e32 v4, v4, v46
	v_fmac_f32_e32 v45, 0.5, v14
	v_sub_f32_e32 v25, v31, v28
	v_dual_mul_f32 v31, 0xbf5db3d7, v34 :: v_dual_add_f32 v14, v1, v27
	v_dual_add_f32 v15, v2, v42 :: v_dual_sub_f32 v28, v1, v27
	v_sub_f32_e32 v29, v2, v42
	s_delay_alu instid0(VALU_DEP_3) | instskip(SKIP_1) | instid1(VALU_DEP_2)
	v_fmac_f32_e32 v31, 0.5, v35
	v_sub_f32_e32 v1, v40, v43
	v_dual_sub_f32 v3, v3, v44 :: v_dual_add_f32 v8, v33, v31
	v_sub_f32_e32 v27, v33, v31
	v_add_f32_e32 v21, v41, v45
	v_sub_f32_e32 v2, v41, v45
	ds_store_b128 v112, v[5:8]
	ds_store_b128 v112, v[14:17] offset:16
	ds_store_b128 v112, v[26:29] offset:32
	ds_store_b128 v111, v[18:21]
	ds_store_b128 v111, v[22:25] offset:16
	ds_store_b128 v111, v[1:4] offset:32
	global_wb scope:SCOPE_SE
	s_wait_dscnt 0x0
	s_barrier_signal -1
	s_barrier_wait -1
	global_inv scope:SCOPE_SE
	s_clause 0x1
	global_load_b128 v[28:31], v[9:10], off
	global_load_b128 v[24:27], v[9:10], off offset:16
	v_add_co_u32 v1, s2, s10, v32
	s_wait_alu 0xf1ff
	v_add_co_ci_u32_e64 v2, null, s11, 0, s2
	s_clause 0x3
	global_load_b64 v[87:88], v[9:10], off offset:32
	global_load_b128 v[44:47], v[1:2], off
	global_load_b128 v[32:35], v[1:2], off offset:16
	global_load_b64 v[91:92], v[1:2], off offset:32
	v_add_co_u32 v14, null, 0x180, v102
	v_mul_u32_u24_e32 v21, 0xe38f, v36
	v_mul_lo_u16 v1, v11, 57
	v_mad_u16 v36, v0, 36, v38
	s_delay_alu instid0(VALU_DEP_4)
	v_and_b32_e32 v2, 0xffff, v14
	ds_load_2addr_stride64_b64 v[8:11], v101 offset0:18 offset1:21
	v_lshrrev_b32_e32 v15, 21, v21
	v_lshrrev_b16 v83, 11, v1
	v_and_b32_e32 v49, 0xffff, v36
	v_mul_u32_u24_e32 v19, 0xe38f, v2
	v_and_b32_e32 v2, 0xffff, v37
	v_mul_lo_u16 v3, v15, 36
	v_mul_lo_u16 v1, v83, 36
	s_delay_alu instid0(VALU_DEP_4) | instskip(NEXT) | instid1(VALU_DEP_4)
	v_lshrrev_b32_e32 v16, 21, v19
	v_mul_u32_u24_e32 v2, 36, v2
	s_delay_alu instid0(VALU_DEP_4) | instskip(NEXT) | instid1(VALU_DEP_4)
	v_sub_nc_u16 v18, v13, v3
	v_sub_nc_u16 v1, v12, v1
	s_delay_alu instid0(VALU_DEP_4) | instskip(NEXT) | instid1(VALU_DEP_4)
	v_mul_lo_u16 v4, v16, 36
	v_add_lshl_u32 v108, v2, v39, 3
	s_delay_alu instid0(VALU_DEP_4)
	v_mul_lo_u16 v40, v18, 24
	ds_load_2addr_stride64_b64 v[36:39], v101 offset0:24 offset1:27
	v_sub_nc_u16 v20, v14, v4
	ds_load_2addr_stride64_b64 v[4:7], v101 offset0:12 offset1:15
	v_and_b32_e32 v50, 0xffff, v40
	ds_load_2addr_stride64_b64 v[40:43], v101 offset0:30 offset1:33
	v_mul_lo_u16 v48, v20, 24
	v_add_co_u32 v77, s2, s10, v50
	s_wait_alu 0xf1ff
	v_add_co_ci_u32_e64 v78, null, s11, 0, s2
	s_wait_loadcnt_dscnt 0x501
	v_dual_mul_f32 v84, v4, v31 :: v_dual_and_b32 v17, 0xff, v1
	ds_load_2addr_stride64_b64 v[0:3], v101 offset0:6 offset1:9
	s_wait_loadcnt 0x4
	v_mul_f32_e32 v90, v36, v27
	v_mul_f32_e32 v82, v5, v31
	v_fmac_f32_e32 v84, v5, v30
	s_wait_loadcnt_dscnt 0x301
	v_mul_f32_e32 v94, v40, v88
	v_dual_fmac_f32 v90, v37, v26 :: v_dual_and_b32 v79, 0xffff, v48
	v_lshlrev_b32_e32 v110, 3, v49
	ds_load_2addr_stride64_b64 v[48:51], v101 offset1:3
	v_fmac_f32_e32 v94, v41, v87
	v_mul_f32_e32 v86, v8, v25
	s_wait_loadcnt 0x2
	v_mul_f32_e32 v98, v6, v47
	v_mul_f32_e32 v89, v37, v27
	s_wait_loadcnt 0x1
	v_dual_mul_f32 v97, v7, v47 :: v_dual_mul_f32 v104, v10, v33
	v_fmac_f32_e32 v86, v9, v24
	v_fmac_f32_e32 v98, v7, v46
	v_dual_mul_f32 v106, v38, v35 :: v_dual_mul_f32 v93, v41, v88
	s_wait_loadcnt_dscnt 0x1
	v_dual_mul_f32 v107, v43, v92 :: v_dual_mul_f32 v80, v1, v29
	v_mul_f32_e32 v81, v0, v29
	v_mul_f32_e32 v96, v2, v45
	v_dual_mul_f32 v85, v9, v25 :: v_dual_fmac_f32 v104, v11, v32
	s_delay_alu instid0(VALU_DEP_4) | instskip(NEXT) | instid1(VALU_DEP_4)
	v_fma_f32 v80, v0, v28, -v80
	v_fmac_f32_e32 v81, v1, v28
	v_fma_f32 v0, v4, v30, -v82
	v_fma_f32 v4, v36, v26, -v89
	v_mul_f32_e32 v95, v3, v45
	v_mul_f32_e32 v103, v11, v33
	v_fmac_f32_e32 v96, v3, v44
	v_fma_f32 v1, v8, v24, -v85
	s_wait_dscnt 0x0
	v_dual_mul_f32 v105, v39, v35 :: v_dual_add_f32 v36, v49, v84
	v_fma_f32 v3, v10, v32, -v103
	v_add_f32_e32 v10, v0, v4
	v_fma_f32 v8, v2, v44, -v95
	v_mul_f32_e32 v109, v42, v92
	v_fma_f32 v2, v6, v46, -v97
	v_fma_f32 v6, v38, v34, -v105
	v_fmac_f32_e32 v106, v39, v34
	v_fma_f32 v5, v40, v87, -v93
	v_dual_fmac_f32 v109, v43, v91 :: v_dual_sub_f32 v40, v86, v94
	s_delay_alu instid0(VALU_DEP_4)
	v_add_f32_e32 v82, v2, v6
	v_fma_f32 v7, v42, v91, -v107
	v_add_f32_e32 v9, v48, v0
	v_sub_f32_e32 v11, v84, v90
	v_dual_add_f32 v39, v1, v5 :: v_dual_add_f32 v42, v86, v94
	v_add_f32_e32 v41, v81, v86
	v_add_f32_e32 v86, v98, v106
	;; [unrolled: 1-line block ×3, first 2 shown]
	v_dual_sub_f32 v84, v98, v106 :: v_dual_add_f32 v97, v96, v104
	v_add_f32_e32 v85, v51, v98
	v_add_f32_e32 v93, v3, v7
	;; [unrolled: 1-line block ×3, first 2 shown]
	v_fma_f32 v50, -0.5, v82, v50
	v_add_f32_e32 v38, v80, v1
	v_sub_f32_e32 v1, v1, v5
	v_add_f32_e32 v98, v104, v109
	v_fma_f32 v48, -0.5, v10, v48
	v_dual_sub_f32 v89, v2, v6 :: v_dual_add_f32 v2, v8, v3
	v_fmac_f32_e32 v80, -0.5, v39
	v_sub_f32_e32 v103, v3, v7
	v_dual_add_f32 v3, v9, v4 :: v_dual_fmamk_f32 v82, v84, 0x3f5db3d7, v50
	v_dual_fmac_f32 v81, -0.5, v42 :: v_dual_sub_f32 v0, v0, v4
	v_add_f32_e32 v4, v36, v90
	v_fma_f32 v49, -0.5, v37, v49
	s_delay_alu instid0(VALU_DEP_3)
	v_dual_add_f32 v5, v38, v5 :: v_dual_fmamk_f32 v38, v1, 0xbf5db3d7, v81
	v_add_f32_e32 v9, v41, v94
	v_dual_fmac_f32 v51, -0.5, v86 :: v_dual_fmac_f32 v50, 0xbf5db3d7, v84
	v_fmac_f32_e32 v96, -0.5, v98
	v_add_f32_e32 v36, v97, v109
	v_add_f32_e32 v10, v85, v106
	v_fmac_f32_e32 v8, -0.5, v93
	v_dual_sub_f32 v95, v104, v109 :: v_dual_add_f32 v6, v43, v6
	v_fmamk_f32 v37, v11, 0x3f5db3d7, v48
	v_fmac_f32_e32 v48, 0xbf5db3d7, v11
	v_dual_add_f32 v7, v2, v7 :: v_dual_fmamk_f32 v84, v89, 0xbf5db3d7, v51
	v_fmamk_f32 v39, v0, 0xbf5db3d7, v49
	v_fmamk_f32 v11, v40, 0x3f5db3d7, v80
	v_fmac_f32_e32 v80, 0xbf5db3d7, v40
	v_dual_fmac_f32 v49, 0x3f5db3d7, v0 :: v_dual_add_f32 v0, v3, v5
	v_sub_f32_e32 v2, v3, v5
	v_fmac_f32_e32 v81, 0x3f5db3d7, v1
	v_dual_add_f32 v1, v4, v9 :: v_dual_fmamk_f32 v40, v103, 0xbf5db3d7, v96
	v_dual_sub_f32 v3, v4, v9 :: v_dual_fmac_f32 v96, 0x3f5db3d7, v103
	v_fmamk_f32 v9, v95, 0x3f5db3d7, v8
	v_fmac_f32_e32 v8, 0xbf5db3d7, v95
	v_add_f32_e32 v4, v6, v7
	v_sub_f32_e32 v6, v6, v7
	v_mul_f32_e32 v90, -0.5, v96
	v_dual_add_f32 v5, v10, v36 :: v_dual_mul_f32 v42, 0xbf5db3d7, v11
	v_dual_sub_f32 v7, v10, v36 :: v_dual_mul_f32 v36, 0x3f5db3d7, v38
	v_mul_f32_e32 v85, 0x3f5db3d7, v40
	v_dual_fmac_f32 v51, 0x3f5db3d7, v89 :: v_dual_mul_f32 v86, -0.5, v8
	v_mul_f32_e32 v43, -0.5, v81
	v_dual_mul_f32 v89, 0xbf5db3d7, v9 :: v_dual_fmac_f32 v90, 0xbf5db3d7, v8
	s_delay_alu instid0(VALU_DEP_4) | instskip(SKIP_2) | instid1(VALU_DEP_4)
	v_dual_fmac_f32 v36, 0.5, v11 :: v_dual_fmac_f32 v85, 0.5, v9
	v_dual_mul_f32 v41, -0.5, v80 :: v_dual_fmac_f32 v42, 0.5, v38
	v_fmac_f32_e32 v86, 0x3f5db3d7, v96
	v_fmac_f32_e32 v89, 0.5, v40
	s_delay_alu instid0(VALU_DEP_4) | instskip(SKIP_4) | instid1(VALU_DEP_3)
	v_add_f32_e32 v8, v37, v36
	v_add_f32_e32 v40, v82, v85
	v_fmac_f32_e32 v41, 0x3f5db3d7, v81
	v_fmac_f32_e32 v43, 0xbf5db3d7, v80
	v_dual_sub_f32 v36, v37, v36 :: v_dual_add_f32 v9, v39, v42
	v_dual_sub_f32 v37, v39, v42 :: v_dual_add_f32 v10, v48, v41
	s_delay_alu instid0(VALU_DEP_3)
	v_dual_sub_f32 v38, v48, v41 :: v_dual_add_f32 v11, v49, v43
	v_sub_f32_e32 v39, v49, v43
	v_mad_co_u64_u32 v[22:23], null, v17, 24, s[10:11]
	v_dual_add_f32 v42, v50, v86 :: v_dual_add_f32 v41, v84, v89
	v_add_f32_e32 v43, v51, v90
	global_wb scope:SCOPE_SE
	s_barrier_signal -1
	s_barrier_wait -1
	global_inv scope:SCOPE_SE
	v_sub_f32_e32 v48, v82, v85
	v_dual_sub_f32 v50, v50, v86 :: v_dual_sub_f32 v49, v84, v89
	v_sub_f32_e32 v51, v51, v90
	ds_store_2addr_b64 v108, v[0:1], v[8:9] offset1:6
	ds_store_2addr_b64 v108, v[10:11], v[2:3] offset0:12 offset1:18
	ds_store_2addr_b64 v108, v[36:37], v[38:39] offset0:24 offset1:30
	ds_store_2addr_b64 v110, v[4:5], v[40:41] offset1:6
	ds_store_2addr_b64 v110, v[42:43], v[6:7] offset0:12 offset1:18
	ds_store_2addr_b64 v110, v[48:49], v[50:51] offset0:24 offset1:30
	v_add_co_u32 v36, s2, s10, v79
	s_wait_alu 0xf1ff
	v_add_co_ci_u32_e64 v37, null, s11, 0, s2
	global_wb scope:SCOPE_SE
	s_wait_dscnt 0x0
	s_barrier_signal -1
	s_barrier_wait -1
	global_inv scope:SCOPE_SE
	s_clause 0x5
	global_load_b128 v[0:3], v[22:23], off offset:240
	global_load_b128 v[4:7], v[77:78], off offset:240
	;; [unrolled: 1-line block ×3, first 2 shown]
	global_load_b64 v[81:82], v[22:23], off offset:256
	global_load_b64 v[79:80], v[77:78], off offset:256
	;; [unrolled: 1-line block ×3, first 2 shown]
	v_add_nc_u32_e32 v22, 0xffffff70, v102
	v_lshrrev_b32_e32 v106, 23, v21
	v_lshrrev_b32_e32 v107, 23, v19
	s_wait_alu 0xfffd
	s_delay_alu instid0(VALU_DEP_3) | instskip(NEXT) | instid1(VALU_DEP_3)
	v_dual_cndmask_b32 v23, v22, v102 :: v_dual_and_b32 v22, 0xffff, v83
	v_mul_lo_u16 v37, 0x90, v106
	s_delay_alu instid0(VALU_DEP_3) | instskip(NEXT) | instid1(VALU_DEP_3)
	v_mul_lo_u16 v38, 0x90, v107
	v_mul_i32_i24_e32 v21, 24, v23
	v_mul_hi_i32_i24_e32 v19, 24, v23
	v_mul_u32_u24_e32 v36, 0x90, v22
	v_sub_nc_u16 v109, v13, v37
	v_sub_nc_u16 v113, v14, v38
	v_add_co_u32 v21, vcc_lo, s10, v21
	s_wait_alu 0xfffd
	v_add_co_ci_u32_e32 v22, vcc_lo, s11, v19, vcc_lo
	v_add_lshl_u32 v103, v36, v17, 3
	v_mad_u16 v36, 0x90, v15, v18
	v_mad_u16 v37, 0x90, v16, v20
	ds_load_2addr_stride64_b64 v[13:16], v101 offset0:6 offset1:9
	ds_load_2addr_stride64_b64 v[17:20], v101 offset0:18 offset1:21
	v_mul_lo_u16 v38, v109, 24
	v_mul_lo_u16 v40, v113, 24
	v_and_b32_e32 v41, 0xffff, v36
	v_and_b32_e32 v42, 0xffff, v37
	v_cmp_lt_u16_e32 vcc_lo, 0x8f, v12
	v_and_b32_e32 v48, 0xffff, v38
	ds_load_2addr_stride64_b64 v[36:39], v101 offset0:12 offset1:15
	v_and_b32_e32 v93, 0xffff, v40
	v_lshlrev_b32_e32 v104, 3, v42
	v_add_co_u32 v89, s2, s10, v48
	s_wait_alu 0xf1ff
	v_add_co_ci_u32_e64 v90, null, s11, 0, s2
	s_wait_loadcnt_dscnt 0x400
	v_mul_f32_e32 v114, v37, v5
	v_dual_mul_f32 v98, v19, v7 :: v_dual_lshlrev_b32 v105, 3, v41
	ds_load_2addr_stride64_b64 v[40:43], v101 offset0:24 offset1:27
	ds_load_2addr_stride64_b64 v[48:51], v101 offset0:30 offset1:33
	ds_load_2addr_stride64_b64 v[83:86], v101 offset1:3
	v_dual_mul_f32 v94, v16, v1 :: v_dual_mul_f32 v95, v18, v3
	s_wait_loadcnt 0x3
	v_mul_f32_e32 v116, v39, v9
	v_mul_f32_e32 v96, v17, v3
	v_dual_mul_f32 v97, v20, v7 :: v_dual_mul_f32 v122, v15, v1
	v_mul_f32_e32 v115, v36, v5
	v_mul_f32_e32 v117, v38, v9
	v_fma_f32 v17, v17, v2, -v95
	v_fmac_f32_e32 v96, v18, v2
	v_fma_f32 v18, v19, v6, -v97
	v_fma_f32 v19, v36, v4, -v114
	;; [unrolled: 1-line block ×3, first 2 shown]
	v_fmac_f32_e32 v122, v16, v0
	global_wb scope:SCOPE_SE
	s_wait_loadcnt_dscnt 0x0
	s_barrier_signal -1
	s_barrier_wait -1
	global_inv scope:SCOPE_SE
	v_mul_f32_e32 v124, v48, v80
	v_mul_f32_e32 v118, v43, v82
	;; [unrolled: 1-line block ×5, first 2 shown]
	v_dual_mul_f32 v121, v40, v11 :: v_dual_mul_f32 v126, v50, v78
	v_dual_mul_f32 v125, v51, v78 :: v_dual_fmac_f32 v124, v49, v79
	v_fma_f32 v36, v42, v81, -v118
	v_dual_fmac_f32 v119, v43, v81 :: v_dual_fmac_f32 v98, v20, v6
	v_fmac_f32_e32 v115, v37, v4
	v_fma_f32 v16, v48, v79, -v123
	v_fma_f32 v20, v38, v8, -v116
	;; [unrolled: 1-line block ×3, first 2 shown]
	v_dual_fmac_f32 v121, v41, v10 :: v_dual_fmac_f32 v126, v51, v77
	v_fma_f32 v38, v50, v77, -v125
	v_sub_f32_e32 v40, v84, v96
	v_fmac_f32_e32 v117, v39, v8
	v_dual_sub_f32 v39, v83, v17 :: v_dual_sub_f32 v42, v86, v98
	v_dual_sub_f32 v17, v15, v36 :: v_dual_sub_f32 v48, v13, v37
	;; [unrolled: 1-line block ×3, first 2 shown]
	v_sub_f32_e32 v18, v19, v16
	v_sub_f32_e32 v43, v115, v124
	;; [unrolled: 1-line block ×4, first 2 shown]
	v_fma_f32 v51, v84, 2.0, -v40
	v_fma_f32 v84, v122, 2.0, -v36
	v_sub_f32_e32 v49, v14, v121
	v_fma_f32 v50, v83, 2.0, -v39
	v_fma_f32 v83, v15, 2.0, -v17
	v_dual_sub_f32 v15, v39, v36 :: v_dual_add_f32 v16, v40, v17
	v_fma_f32 v85, v85, 2.0, -v41
	v_fma_f32 v86, v86, 2.0, -v42
	;; [unrolled: 1-line block ×4, first 2 shown]
	v_dual_sub_f32 v17, v41, v43 :: v_dual_add_f32 v18, v42, v18
	v_fma_f32 v96, v13, 2.0, -v48
	v_fma_f32 v43, v20, 2.0, -v37
	;; [unrolled: 1-line block ×3, first 2 shown]
	v_sub_f32_e32 v20, v51, v84
	v_fma_f32 v97, v14, 2.0, -v49
	v_sub_f32_e32 v19, v50, v83
	v_dual_sub_f32 v13, v48, v38 :: v_dual_add_f32 v14, v49, v37
	v_fma_f32 v36, v39, 2.0, -v15
	v_dual_sub_f32 v38, v85, v94 :: v_dual_sub_f32 v39, v86, v95
	v_fma_f32 v37, v40, 2.0, -v16
	v_fma_f32 v40, v41, 2.0, -v17
	;; [unrolled: 1-line block ×3, first 2 shown]
	v_dual_sub_f32 v42, v96, v43 :: v_dual_sub_f32 v43, v97, v98
	v_fma_f32 v50, v50, 2.0, -v19
	v_fma_f32 v51, v51, 2.0, -v20
	;; [unrolled: 1-line block ×8, first 2 shown]
	ds_store_2addr_b64 v103, v[19:20], v[15:16] offset0:72 offset1:108
	ds_store_2addr_b64 v103, v[50:51], v[36:37] offset1:36
	ds_store_2addr_b64 v105, v[83:84], v[40:41] offset1:36
	ds_store_2addr_b64 v105, v[38:39], v[17:18] offset0:72 offset1:108
	ds_store_2addr_b64 v104, v[85:86], v[48:49] offset1:36
	ds_store_2addr_b64 v104, v[42:43], v[13:14] offset0:72 offset1:108
	global_wb scope:SCOPE_SE
	s_wait_dscnt 0x0
	s_barrier_signal -1
	s_barrier_wait -1
	global_inv scope:SCOPE_SE
	global_load_b128 v[48:51], v[21:22], off offset:1104
	v_add_co_u32 v13, s2, s10, v93
	s_wait_alu 0xf1ff
	v_add_co_ci_u32_e64 v14, null, s11, 0, s2
	s_clause 0x4
	global_load_b128 v[40:43], v[89:90], off offset:1104
	global_load_b128 v[36:39], v[13:14], off offset:1104
	global_load_b64 v[97:98], v[21:22], off offset:1120
	global_load_b64 v[95:96], v[89:90], off offset:1120
	global_load_b64 v[93:94], v[13:14], off offset:1120
	v_mad_u16 v13, 0x240, v106, v109
	v_mad_u16 v16, 0x240, v107, v113
	s_wait_alu 0xfffd
	v_cndmask_b32_e64 v17, 0, 0x240, vcc_lo
	ds_load_2addr_stride64_b64 v[83:86], v101 offset0:30 offset1:33
	v_mad_co_u64_u32 v[124:125], null, v102, 24, s[10:11]
	v_and_b32_e32 v20, 0xffff, v13
	ds_load_2addr_stride64_b64 v[12:15], v101 offset0:18 offset1:21
	v_and_b32_e32 v21, 0xffff, v16
	v_add_lshl_u32 v106, v23, v17, 3
	ds_load_2addr_stride64_b64 v[16:19], v101 offset0:12 offset1:15
	v_lshlrev_b32_e32 v109, 3, v20
	s_add_nc_u64 s[2:3], s[8:9], 0x4800
	s_wait_loadcnt_dscnt 0x501
	v_dual_mul_f32 v90, v12, v51 :: v_dual_add_nc_u32 v115, 0x800, v106
	v_lshlrev_b32_e32 v107, 3, v21
	ds_load_2addr_stride64_b64 v[20:23], v101 offset0:24 offset1:27
	ds_load_2addr_stride64_b64 v[116:119], v101 offset0:6 offset1:9
	ds_load_2addr_stride64_b64 v[120:123], v101 offset1:3
	s_wait_loadcnt 0x4
	v_dual_mul_f32 v126, v15, v43 :: v_dual_add_nc_u32 v113, 0x800, v109
	s_wait_dscnt 0x3
	v_mul_f32_e32 v129, v16, v41
	s_wait_loadcnt 0x1
	v_dual_mul_f32 v89, v13, v51 :: v_dual_mul_f32 v136, v84, v96
	v_dual_mul_f32 v127, v14, v43 :: v_dual_mul_f32 v128, v17, v41
	v_dual_mul_f32 v131, v18, v37 :: v_dual_fmac_f32 v90, v13, v50
	v_dual_fmac_f32 v129, v17, v40 :: v_dual_mul_f32 v130, v19, v37
	s_delay_alu instid0(VALU_DEP_4)
	v_fma_f32 v12, v12, v50, -v89
	s_wait_loadcnt 0x0
	v_mul_f32_e32 v140, v86, v94
	v_fma_f32 v13, v14, v42, -v126
	v_fma_f32 v14, v16, v40, -v128
	;; [unrolled: 1-line block ×4, first 2 shown]
	global_wb scope:SCOPE_SE
	s_wait_dscnt 0x0
	v_mul_f32_e32 v132, v23, v98
	v_add_nc_u32_e32 v114, 0x800, v107
	v_mul_f32_e32 v134, v21, v39
	v_dual_mul_f32 v138, v119, v49 :: v_dual_mul_f32 v135, v20, v39
	v_fmac_f32_e32 v127, v15, v42
	v_fma_f32 v15, v22, v97, -v132
	s_delay_alu instid0(VALU_DEP_4) | instskip(SKIP_3) | instid1(VALU_DEP_4)
	v_fma_f32 v17, v20, v38, -v134
	v_dual_mul_f32 v133, v22, v98 :: v_dual_sub_f32 v22, v120, v12
	v_fmac_f32_e32 v135, v21, v38
	v_mul_f32_e32 v137, v83, v96
	v_sub_f32_e32 v89, v116, v17
	v_fmac_f32_e32 v131, v19, v36
	v_fma_f32 v19, v118, v48, -v138
	v_sub_f32_e32 v83, v122, v13
	v_sub_f32_e32 v17, v14, v18
	v_fma_f32 v20, v85, v93, -v140
	v_mul_f32_e32 v141, v85, v94
	v_sub_f32_e32 v15, v19, v15
	s_barrier_signal -1
	s_barrier_wait -1
	v_sub_f32_e32 v20, v16, v20
	global_inv scope:SCOPE_SE
	v_fma_f32 v19, v19, 2.0, -v15
	v_fmac_f32_e32 v133, v23, v97
	v_sub_f32_e32 v23, v121, v90
	v_sub_f32_e32 v90, v117, v135
	v_fmac_f32_e32 v137, v84, v95
	v_fma_f32 v126, v16, 2.0, -v20
	s_delay_alu instid0(VALU_DEP_2) | instskip(SKIP_4) | instid1(VALU_DEP_4)
	v_dual_add_f32 v13, v23, v15 :: v_dual_sub_f32 v18, v129, v137
	v_dual_mul_f32 v139, v118, v49 :: v_dual_sub_f32 v84, v123, v127
	v_fma_f32 v118, v120, 2.0, -v22
	v_fma_f32 v120, v122, 2.0, -v83
	;; [unrolled: 1-line block ×3, first 2 shown]
	v_fmac_f32_e32 v139, v119, v48
	v_fma_f32 v119, v121, 2.0, -v23
	v_fma_f32 v121, v123, 2.0, -v84
	;; [unrolled: 1-line block ×3, first 2 shown]
	v_fmac_f32_e32 v141, v86, v93
	v_sub_f32_e32 v21, v139, v133
	v_fma_f32 v116, v14, 2.0, -v17
	v_dual_sub_f32 v14, v83, v18 :: v_dual_add_f32 v15, v84, v17
	s_delay_alu instid0(VALU_DEP_4) | instskip(NEXT) | instid1(VALU_DEP_4)
	v_sub_f32_e32 v85, v131, v141
	v_fma_f32 v86, v139, 2.0, -v21
	v_sub_f32_e32 v12, v22, v21
	v_fma_f32 v117, v129, 2.0, -v18
	v_sub_f32_e32 v18, v118, v19
	v_sub_f32_e32 v16, v89, v85
	v_fma_f32 v127, v131, 2.0, -v85
	v_sub_f32_e32 v19, v119, v86
	v_add_f32_e32 v17, v90, v20
	v_fma_f32 v20, v22, 2.0, -v12
	v_fma_f32 v21, v23, 2.0, -v13
	v_dual_sub_f32 v22, v120, v116 :: v_dual_sub_f32 v23, v121, v117
	v_dual_sub_f32 v85, v122, v126 :: v_dual_sub_f32 v86, v123, v127
	v_fma_f32 v116, v118, 2.0, -v18
	v_fma_f32 v117, v119, 2.0, -v19
	;; [unrolled: 1-line block ×10, first 2 shown]
	ds_store_2addr_b64 v115, v[18:19], v[12:13] offset0:32 offset1:176
	ds_store_2addr_b64 v106, v[116:117], v[20:21] offset1:144
	ds_store_2addr_b64 v109, v[118:119], v[83:84] offset1:144
	ds_store_2addr_b64 v113, v[22:23], v[14:15] offset0:32 offset1:176
	ds_store_2addr_b64 v107, v[120:121], v[89:90] offset1:144
	ds_store_2addr_b64 v114, v[85:86], v[16:17] offset0:32 offset1:176
	global_wb scope:SCOPE_SE
	s_wait_dscnt 0x0
	s_barrier_signal -1
	s_barrier_wait -1
	global_inv scope:SCOPE_SE
	s_clause 0x5
	global_load_b128 v[12:15], v[124:125], off offset:4560
	global_load_b128 v[16:19], v[124:125], off offset:9168
	;; [unrolled: 1-line block ×3, first 2 shown]
	global_load_b64 v[83:84], v[124:125], off offset:4576
	global_load_b64 v[89:90], v[124:125], off offset:9184
	;; [unrolled: 1-line block ×3, first 2 shown]
	ds_load_2addr_stride64_b64 v[116:119], v101 offset0:18 offset1:21
	ds_load_2addr_stride64_b64 v[120:123], v101 offset0:12 offset1:15
	;; [unrolled: 1-line block ×5, first 2 shown]
	ds_load_2addr_stride64_b64 v[136:139], v101 offset1:3
	s_wait_loadcnt_dscnt 0x505
	v_mul_f32_e32 v140, v117, v15
	v_mul_f32_e32 v141, v116, v15
	s_wait_loadcnt_dscnt 0x303
	v_mul_f32_e32 v151, v124, v23
	v_mul_f32_e32 v142, v119, v19
	;; [unrolled: 1-line block ×3, first 2 shown]
	v_fma_f32 v116, v116, v14, -v140
	v_mul_f32_e32 v150, v125, v23
	s_wait_loadcnt 0x2
	v_dual_fmac_f32 v151, v125, v22 :: v_dual_mul_f32 v148, v127, v84
	s_wait_dscnt 0x1
	v_mul_f32_e32 v157, v135, v13
	s_wait_dscnt 0x0
	v_sub_f32_e32 v125, v136, v116
	v_fmac_f32_e32 v141, v117, v14
	v_fma_f32 v117, v118, v18, -v142
	v_mul_f32_e32 v149, v126, v84
	v_mul_f32_e32 v156, v134, v13
	v_fma_f32 v136, v136, 2.0, -v125
	v_mul_f32_e32 v143, v118, v19
	v_fma_f32 v118, v120, v16, -v144
	v_mul_f32_e32 v145, v120, v17
	v_fma_f32 v120, v126, v83, -v148
	v_fmac_f32_e32 v149, v127, v83
	v_fmac_f32_e32 v156, v135, v12
	s_delay_alu instid0(VALU_DEP_4)
	v_dual_mul_f32 v146, v123, v21 :: v_dual_fmac_f32 v145, v121, v16
	v_fma_f32 v121, v124, v22, -v150
	v_fma_f32 v124, v134, v12, -v157
	s_wait_loadcnt 0x0
	v_mul_f32_e32 v154, v131, v86
	v_sub_f32_e32 v126, v137, v141
	v_sub_f32_e32 v127, v156, v149
	;; [unrolled: 1-line block ×3, first 2 shown]
	v_dual_sub_f32 v120, v124, v120 :: v_dual_mul_f32 v147, v122, v21
	v_mul_f32_e32 v152, v129, v90
	s_delay_alu instid0(VALU_DEP_4) | instskip(NEXT) | instid1(VALU_DEP_4)
	v_sub_f32_e32 v116, v125, v127
	v_fma_f32 v141, v132, 2.0, -v134
	v_mul_f32_e32 v155, v130, v86
	v_fma_f32 v124, v124, 2.0, -v120
	v_fmac_f32_e32 v147, v123, v20
	v_fma_f32 v123, v130, v85, -v154
	v_sub_f32_e32 v130, v138, v117
	s_delay_alu instid0(VALU_DEP_4)
	v_dual_fmac_f32 v155, v131, v85 :: v_dual_sub_f32 v124, v136, v124
	v_fmac_f32_e32 v143, v119, v18
	v_fma_f32 v119, v122, v20, -v146
	v_fma_f32 v122, v128, v89, -v152
	v_add_f32_e32 v117, v126, v120
	v_sub_f32_e32 v135, v133, v151
	v_sub_f32_e32 v131, v139, v143
	v_sub_f32_e32 v121, v119, v123
	v_sub_f32_e32 v123, v147, v155
	v_mul_f32_e32 v153, v128, v90
	v_sub_f32_e32 v122, v118, v122
	v_fma_f32 v137, v137, 2.0, -v126
	v_fma_f32 v138, v138, 2.0, -v130
	s_delay_alu instid0(VALU_DEP_4)
	v_dual_sub_f32 v120, v134, v123 :: v_dual_fmac_f32 v153, v129, v89
	v_fma_f32 v139, v139, 2.0, -v131
	v_fma_f32 v127, v156, 2.0, -v127
	;; [unrolled: 1-line block ×4, first 2 shown]
	v_sub_f32_e32 v128, v145, v153
	v_fma_f32 v132, v147, 2.0, -v123
	v_fma_f32 v123, v126, 2.0, -v117
	v_sub_f32_e32 v126, v138, v129
	s_delay_alu instid0(VALU_DEP_4)
	v_fma_f32 v140, v145, 2.0, -v128
	v_sub_f32_e32 v118, v130, v128
	v_fma_f32 v128, v119, 2.0, -v121
	v_add_f32_e32 v119, v131, v122
	v_add_f32_e32 v121, v135, v121
	v_fma_f32 v122, v125, 2.0, -v116
	v_sub_f32_e32 v125, v137, v127
	v_sub_f32_e32 v127, v139, v140
	;; [unrolled: 1-line block ×4, first 2 shown]
	v_fma_f32 v132, v134, 2.0, -v120
	v_fma_f32 v133, v135, 2.0, -v121
	ds_store_b64 v101, v[122:123] offset:4608
	v_fma_f32 v122, v136, 2.0, -v124
	v_fma_f32 v123, v137, 2.0, -v125
	;; [unrolled: 1-line block ×6, first 2 shown]
	ds_store_b64 v101, v[116:117] offset:13824
	ds_store_b64 v101, v[124:125] offset:9216
	v_fma_f32 v116, v141, 2.0, -v128
	v_fma_f32 v117, v142, 2.0, -v129
	ds_store_2addr_stride64_b64 v101, v[122:123], v[134:135] offset1:3
	ds_store_b64 v101, v[118:119] offset:15360
	ds_store_2addr_stride64_b64 v101, v[130:131], v[132:133] offset0:12 offset1:15
	ds_store_2addr_stride64_b64 v101, v[126:127], v[128:129] offset0:21 offset1:24
	ds_store_b64 v101, v[116:117] offset:3072
	ds_store_b64 v101, v[120:121] offset:16896
	global_wb scope:SCOPE_SE
	s_wait_dscnt 0x0
	s_barrier_signal -1
	s_barrier_wait -1
	global_inv scope:SCOPE_SE
	s_clause 0xb
	global_load_b64 v[120:121], v101, s[8:9] offset:18432
	global_load_b64 v[132:133], v101, s[2:3] offset:1536
	;; [unrolled: 1-line block ×12, first 2 shown]
	ds_load_2addr_stride64_b64 v[116:119], v101 offset1:3
	s_mov_b32 s2, 0x1c71c71c
	s_mov_b32 s3, 0x3f3c71c7
	s_wait_loadcnt_dscnt 0xa00
	v_mul_f32_e32 v157, v118, v133
	s_delay_alu instid0(VALU_DEP_1) | instskip(SKIP_2) | instid1(VALU_DEP_2)
	v_fmac_f32_e32 v157, v119, v132
	v_mul_f32_e32 v123, v117, v121
	v_mul_f32_e32 v122, v116, v121
	v_fma_f32 v121, v116, v120, -v123
	s_delay_alu instid0(VALU_DEP_2)
	v_fmac_f32_e32 v122, v117, v120
	v_mul_f32_e32 v116, v119, v133
	ds_store_b64 v101, v[121:122]
	ds_load_2addr_stride64_b64 v[120:123], v101 offset0:6 offset1:9
	ds_load_2addr_stride64_b64 v[124:127], v101 offset0:12 offset1:15
	ds_load_2addr_stride64_b64 v[128:131], v101 offset0:18 offset1:21
	v_fma_f32 v156, v118, v132, -v116
	ds_load_2addr_stride64_b64 v[116:119], v101 offset0:24 offset1:27
	ds_load_2addr_stride64_b64 v[132:135], v101 offset0:30 offset1:33
	s_wait_loadcnt_dscnt 0x904
	v_mul_f32_e32 v159, v120, v137
	v_mul_f32_e32 v158, v121, v137
	s_wait_loadcnt 0x8
	v_mul_f32_e32 v160, v123, v139
	v_mul_f32_e32 v137, v122, v139
	s_wait_loadcnt_dscnt 0x502
	v_mul_f32_e32 v139, v128, v145
	v_fmac_f32_e32 v159, v121, v136
	v_mul_f32_e32 v121, v124, v141
	v_fma_f32 v158, v120, v136, -v158
	v_mul_f32_e32 v120, v125, v141
	v_fma_f32 v136, v122, v138, -v160
	v_fmac_f32_e32 v137, v123, v138
	v_mul_f32_e32 v122, v127, v143
	v_mul_f32_e32 v123, v126, v143
	v_fmac_f32_e32 v121, v125, v140
	s_wait_loadcnt 0x4
	v_dual_mul_f32 v125, v130, v147 :: v_dual_mul_f32 v138, v129, v145
	v_fma_f32 v120, v124, v140, -v120
	v_mul_f32_e32 v124, v131, v147
	v_fma_f32 v122, v126, v142, -v122
	s_wait_loadcnt_dscnt 0x301
	v_dual_mul_f32 v126, v117, v149 :: v_dual_fmac_f32 v123, v127, v142
	s_wait_loadcnt 0x2
	v_dual_mul_f32 v127, v116, v149 :: v_dual_mul_f32 v140, v119, v151
	s_wait_loadcnt_dscnt 0x100
	v_dual_mul_f32 v141, v118, v151 :: v_dual_mul_f32 v142, v133, v153
	v_fmac_f32_e32 v139, v129, v144
	v_mul_f32_e32 v129, v132, v153
	s_wait_loadcnt 0x0
	v_mul_f32_e32 v143, v135, v155
	v_fmac_f32_e32 v125, v131, v146
	v_mul_f32_e32 v131, v134, v155
	v_fma_f32 v138, v128, v144, -v138
	v_fma_f32 v124, v130, v146, -v124
	v_fma_f32 v126, v116, v148, -v126
	v_fmac_f32_e32 v127, v117, v148
	v_fma_f32 v140, v118, v150, -v140
	v_fmac_f32_e32 v141, v119, v150
	v_fma_f32 v128, v132, v152, -v142
	;; [unrolled: 2-line block ×3, first 2 shown]
	v_fmac_f32_e32 v131, v135, v154
	ds_store_2addr_stride64_b64 v101, v[156:157], v[158:159] offset0:3 offset1:6
	ds_store_2addr_stride64_b64 v101, v[136:137], v[120:121] offset0:9 offset1:12
	;; [unrolled: 1-line block ×5, first 2 shown]
	ds_store_b64 v101, v[130:131] offset:16896
	global_wb scope:SCOPE_SE
	s_wait_dscnt 0x0
	s_barrier_signal -1
	s_barrier_wait -1
	global_inv scope:SCOPE_SE
	ds_load_2addr_stride64_b64 v[116:119], v101 offset1:3
	ds_load_2addr_stride64_b64 v[120:123], v101 offset0:12 offset1:15
	ds_load_2addr_stride64_b64 v[124:127], v101 offset0:24 offset1:27
	;; [unrolled: 1-line block ×5, first 2 shown]
	global_wb scope:SCOPE_SE
	s_wait_dscnt 0x0
	s_barrier_signal -1
	s_barrier_wait -1
	global_inv scope:SCOPE_SE
	v_add_f32_e32 v140, v116, v120
	v_add_f32_e32 v142, v120, v124
	v_dual_sub_f32 v144, v120, v124 :: v_dual_add_f32 v149, v129, v133
	v_sub_f32_e32 v151, v133, v137
	v_dual_add_f32 v133, v133, v137 :: v_dual_add_f32 v120, v118, v122
	v_dual_add_f32 v145, v122, v126 :: v_dual_add_f32 v148, v128, v132
	v_add_f32_e32 v150, v132, v136
	v_sub_f32_e32 v132, v132, v136
	v_dual_add_f32 v152, v130, v134 :: v_dual_add_f32 v155, v135, v139
	v_fma_f32 v129, -0.5, v133, v129
	v_add_f32_e32 v146, v119, v123
	v_sub_f32_e32 v147, v123, v127
	v_dual_add_f32 v123, v123, v127 :: v_dual_sub_f32 v122, v122, v126
	v_dual_add_f32 v153, v134, v138 :: v_dual_add_f32 v154, v131, v135
	v_sub_f32_e32 v134, v134, v138
	v_add_f32_e32 v124, v140, v124
	v_add_f32_e32 v140, v120, v126
	;; [unrolled: 1-line block ×4, first 2 shown]
	v_fma_f32 v128, -0.5, v150, v128
	v_fma_f32 v138, -0.5, v142, v116
	v_fmac_f32_e32 v131, -0.5, v155
	v_fma_f32 v142, -0.5, v145, v118
	v_dual_fmamk_f32 v118, v132, 0x3f5db3d7, v129 :: v_dual_sub_f32 v143, v121, v125
	v_fmac_f32_e32 v119, -0.5, v123
	v_dual_fmamk_f32 v123, v151, 0xbf5db3d7, v128 :: v_dual_add_f32 v120, v124, v126
	v_sub_f32_e32 v126, v124, v126
	v_fmamk_f32 v124, v134, 0x3f5db3d7, v131
	v_fmac_f32_e32 v131, 0xbf5db3d7, v134
	v_mul_f32_e32 v134, 0xbf5db3d7, v118
	v_dual_mul_f32 v118, 0.5, v118 :: v_dual_add_f32 v141, v117, v121
	v_add_f32_e32 v121, v121, v125
	v_sub_f32_e32 v135, v135, v139
	v_fma_f32 v130, -0.5, v153, v130
	s_delay_alu instid0(VALU_DEP_4)
	v_dual_fmac_f32 v118, 0x3f5db3d7, v123 :: v_dual_add_f32 v125, v141, v125
	v_add_f32_e32 v141, v146, v127
	v_add_f32_e32 v127, v149, v137
	;; [unrolled: 1-line block ×3, first 2 shown]
	v_fma_f32 v139, -0.5, v121, v117
	v_dual_fmac_f32 v129, 0xbf5db3d7, v132 :: v_dual_fmac_f32 v134, 0.5, v123
	s_delay_alu instid0(VALU_DEP_4) | instskip(NEXT) | instid1(VALU_DEP_3)
	v_add_f32_e32 v121, v125, v127
	v_dual_sub_f32 v127, v125, v127 :: v_dual_fmamk_f32 v146, v144, 0x3f5db3d7, v139
	v_fmac_f32_e32 v139, 0xbf5db3d7, v144
	v_fmamk_f32 v125, v135, 0xbf5db3d7, v130
	v_fmac_f32_e32 v130, 0x3f5db3d7, v135
	v_mul_f32_e32 v144, 0xbf5db3d7, v131
	v_fmac_f32_e32 v128, 0x3f5db3d7, v151
	v_mul_f32_e32 v135, 0xbf5db3d7, v129
	v_dual_mul_f32 v129, -0.5, v129 :: v_dual_add_f32 v116, v140, v136
	s_delay_alu instid0(VALU_DEP_4)
	v_fmac_f32_e32 v144, -0.5, v130
	v_fmamk_f32 v145, v143, 0xbf5db3d7, v138
	v_dual_fmac_f32 v138, 0x3f5db3d7, v143 :: v_dual_add_f32 v117, v141, v137
	v_dual_sub_f32 v132, v140, v136 :: v_dual_sub_f32 v133, v141, v137
	v_fmamk_f32 v143, v122, 0x3f5db3d7, v119
	v_fmac_f32_e32 v119, 0xbf5db3d7, v122
	v_dual_mul_f32 v141, -0.5, v131 :: v_dual_mul_f32 v148, 0.5, v124
	v_add_f32_e32 v122, v145, v134
	v_fmamk_f32 v140, v147, 0xbf5db3d7, v142
	v_fmac_f32_e32 v142, 0x3f5db3d7, v147
	v_mul_f32_e32 v147, 0xbf5db3d7, v124
	v_fmac_f32_e32 v135, -0.5, v128
	v_fmac_f32_e32 v129, 0x3f5db3d7, v128
	v_dual_fmac_f32 v141, 0x3f5db3d7, v130 :: v_dual_fmac_f32 v148, 0x3f5db3d7, v125
	s_delay_alu instid0(VALU_DEP_4) | instskip(SKIP_1) | instid1(VALU_DEP_4)
	v_fmac_f32_e32 v147, 0.5, v125
	v_add_f32_e32 v123, v146, v118
	v_dual_add_f32 v124, v138, v135 :: v_dual_add_f32 v125, v139, v129
	v_sub_f32_e32 v134, v145, v134
	v_sub_f32_e32 v136, v138, v135
	;; [unrolled: 1-line block ×4, first 2 shown]
	v_add_f32_e32 v131, v119, v141
	v_dual_sub_f32 v141, v119, v141 :: v_dual_add_f32 v118, v140, v147
	v_dual_add_f32 v119, v143, v148 :: v_dual_sub_f32 v138, v140, v147
	v_add_f32_e32 v130, v142, v144
	v_sub_f32_e32 v139, v143, v148
	v_sub_f32_e32 v140, v142, v144
	ds_store_b128 v112, v[120:123]
	ds_store_b128 v112, v[124:127] offset:16
	ds_store_b128 v112, v[134:137] offset:32
	ds_store_b128 v111, v[116:119]
	ds_store_b128 v111, v[130:133] offset:16
	ds_store_b128 v111, v[138:141] offset:32
	global_wb scope:SCOPE_SE
	s_wait_dscnt 0x0
	s_barrier_signal -1
	s_barrier_wait -1
	global_inv scope:SCOPE_SE
	ds_load_2addr_stride64_b64 v[116:119], v101 offset0:6 offset1:9
	ds_load_2addr_stride64_b64 v[120:123], v101 offset0:12 offset1:15
	;; [unrolled: 1-line block ×5, first 2 shown]
	ds_load_2addr_stride64_b64 v[136:139], v101 offset1:3
	global_wb scope:SCOPE_SE
	s_wait_dscnt 0x0
	s_barrier_signal -1
	s_barrier_wait -1
	global_inv scope:SCOPE_SE
	v_mul_f32_e32 v111, v29, v117
	v_mul_f32_e32 v141, v47, v123
	;; [unrolled: 1-line block ×6, first 2 shown]
	v_fmac_f32_e32 v141, v46, v122
	v_fmac_f32_e32 v144, v32, v126
	s_delay_alu instid0(VALU_DEP_4)
	v_dual_mul_f32 v142, v25, v125 :: v_dual_fmac_f32 v147, v91, v134
	v_mul_f32_e32 v146, v88, v133
	v_fmac_f32_e32 v111, v28, v116
	v_fmac_f32_e32 v140, v44, v118
	v_mul_f32_e32 v112, v31, v121
	v_dual_sub_f32 v122, v144, v147 :: v_dual_mul_f32 v29, v29, v116
	v_mul_f32_e32 v45, v45, v118
	v_mul_f32_e32 v25, v25, v124
	;; [unrolled: 1-line block ×3, first 2 shown]
	v_fmac_f32_e32 v142, v24, v124
	v_fma_f32 v116, v28, v117, -v29
	v_dual_add_f32 v117, v144, v147 :: v_dual_fmac_f32 v146, v87, v132
	v_add_f32_e32 v118, v140, v144
	v_mul_f32_e32 v92, v92, v134
	v_fmac_f32_e32 v112, v30, v120
	s_delay_alu instid0(VALU_DEP_4)
	v_dual_fmac_f32 v140, -0.5, v117 :: v_dual_mul_f32 v31, v31, v120
	v_fma_f32 v24, v24, v125, -v25
	v_mul_f32_e32 v145, v35, v131
	v_fma_f32 v29, v46, v123, -v47
	v_mul_f32_e32 v33, v33, v126
	v_fma_f32 v28, v30, v121, -v31
	v_fma_f32 v30, v87, v133, -v88
	v_add_f32_e32 v88, v142, v146
	v_fma_f32 v31, v91, v135, -v92
	v_add_f32_e32 v87, v111, v142
	v_mul_f32_e32 v35, v35, v130
	s_delay_alu instid0(VALU_DEP_4) | instskip(SKIP_2) | instid1(VALU_DEP_3)
	v_dual_sub_f32 v92, v24, v30 :: v_dual_fmac_f32 v111, -0.5, v88
	v_add_f32_e32 v46, v24, v30
	v_add_f32_e32 v47, v116, v24
	v_dual_sub_f32 v91, v142, v146 :: v_dual_fmamk_f32 v88, v92, 0xbf5db3d7, v111
	v_fmac_f32_e32 v145, v34, v130
	s_delay_alu instid0(VALU_DEP_4) | instskip(SKIP_2) | instid1(VALU_DEP_4)
	v_fmac_f32_e32 v116, -0.5, v46
	v_dual_add_f32 v46, v118, v147 :: v_dual_mul_f32 v143, v27, v129
	v_fmac_f32_e32 v111, 0x3f5db3d7, v92
	v_dual_add_f32 v123, v141, v145 :: v_dual_add_f32 v30, v47, v30
	s_delay_alu instid0(VALU_DEP_3) | instskip(NEXT) | instid1(VALU_DEP_2)
	v_fmac_f32_e32 v143, v26, v128
	v_fma_f32 v117, -0.5, v123, v138
	v_mul_f32_e32 v27, v27, v128
	s_delay_alu instid0(VALU_DEP_1)
	v_fma_f32 v25, v26, v129, -v27
	v_fma_f32 v26, v32, v127, -v33
	;; [unrolled: 1-line block ×3, first 2 shown]
	v_add_f32_e32 v32, v136, v112
	v_add_f32_e32 v35, v137, v28
	;; [unrolled: 1-line block ×3, first 2 shown]
	v_sub_f32_e32 v34, v112, v143
	v_add_f32_e32 v24, v29, v27
	v_dual_add_f32 v112, v139, v29 :: v_dual_sub_f32 v125, v29, v27
	v_dual_add_f32 v29, v32, v143 :: v_dual_add_f32 v32, v35, v25
	v_add_f32_e32 v35, v87, v146
	v_fmamk_f32 v87, v91, 0x3f5db3d7, v116
	v_fmac_f32_e32 v116, 0xbf5db3d7, v91
	v_fma_f32 v44, v44, v119, -v45
	v_fmac_f32_e32 v139, -0.5, v24
	v_add_f32_e32 v47, v112, v27
	v_add_f32_e32 v24, v29, v35
	v_mul_f32_e32 v92, -0.5, v116
	v_dual_add_f32 v120, v44, v26 :: v_dual_mul_f32 v91, 0xbf5db3d7, v116
	s_delay_alu instid0(VALU_DEP_2) | instskip(SKIP_1) | instid1(VALU_DEP_3)
	v_dual_sub_f32 v27, v32, v30 :: v_dual_fmac_f32 v92, 0x3f5db3d7, v111
	v_sub_f32_e32 v45, v28, v25
	v_dual_add_f32 v28, v28, v25 :: v_dual_fmac_f32 v91, -0.5, v111
	v_add_f32_e32 v25, v32, v30
	s_delay_alu instid0(VALU_DEP_2) | instskip(NEXT) | instid1(VALU_DEP_1)
	v_fma_f32 v127, -0.5, v28, v137
	v_fmamk_f32 v118, v34, 0x3f5db3d7, v127
	v_dual_fmac_f32 v127, 0xbf5db3d7, v34 :: v_dual_mul_f32 v34, 0xbf5db3d7, v87
	s_delay_alu instid0(VALU_DEP_1) | instskip(SKIP_2) | instid1(VALU_DEP_3)
	v_dual_fmac_f32 v34, 0.5, v88 :: v_dual_add_f32 v119, v26, v31
	v_sub_f32_e32 v26, v26, v31
	v_add_f32_e32 v31, v120, v31
	v_fmac_f32_e32 v44, -0.5, v119
	s_delay_alu instid0(VALU_DEP_1) | instskip(SKIP_3) | instid1(VALU_DEP_4)
	v_fmamk_f32 v120, v122, 0x3f5db3d7, v44
	v_fmac_f32_e32 v44, 0xbf5db3d7, v122
	v_fmamk_f32 v122, v125, 0xbf5db3d7, v117
	v_fmac_f32_e32 v117, 0x3f5db3d7, v125
	v_mul_f32_e32 v116, 0xbf5db3d7, v120
	v_dual_mul_f32 v120, 0.5, v120 :: v_dual_sub_f32 v121, v141, v145
	s_delay_alu instid0(VALU_DEP_1)
	v_dual_add_f32 v124, v138, v141 :: v_dual_fmamk_f32 v119, v121, 0x3f5db3d7, v139
	v_fmac_f32_e32 v139, 0xbf5db3d7, v121
	v_fmamk_f32 v121, v26, 0xbf5db3d7, v140
	v_fmac_f32_e32 v140, 0x3f5db3d7, v26
	v_sub_f32_e32 v26, v29, v35
	v_add_f32_e32 v29, v47, v31
	v_sub_f32_e32 v31, v47, v31
	v_dual_mul_f32 v47, 0.5, v87 :: v_dual_fmac_f32 v120, 0x3f5db3d7, v121
	v_fma_f32 v126, -0.5, v33, v136
	v_add_f32_e32 v33, v124, v145
	s_delay_alu instid0(VALU_DEP_3) | instskip(SKIP_1) | instid1(VALU_DEP_4)
	v_dual_fmac_f32 v116, 0.5, v121 :: v_dual_fmac_f32 v47, 0x3f5db3d7, v88
	v_add_f32_e32 v88, v127, v92
	v_fmamk_f32 v112, v45, 0xbf5db3d7, v126
	v_dual_fmac_f32 v126, 0x3f5db3d7, v45 :: v_dual_mul_f32 v45, -0.5, v44
	v_mul_f32_e32 v44, 0xbf5db3d7, v44
	v_add_f32_e32 v28, v33, v46
	v_sub_f32_e32 v30, v33, v46
	s_delay_alu instid0(VALU_DEP_4) | instskip(NEXT) | instid1(VALU_DEP_4)
	v_dual_add_f32 v32, v112, v34 :: v_dual_fmac_f32 v45, 0x3f5db3d7, v140
	v_dual_fmac_f32 v44, -0.5, v140 :: v_dual_add_f32 v33, v118, v47
	v_dual_add_f32 v87, v126, v91 :: v_dual_sub_f32 v46, v112, v34
	v_sub_f32_e32 v47, v118, v47
	v_dual_sub_f32 v91, v126, v91 :: v_dual_sub_f32 v92, v127, v92
	v_add_f32_e32 v111, v122, v116
	v_add_f32_e32 v112, v119, v120
	v_dual_add_f32 v35, v139, v45 :: v_dual_add_f32 v34, v117, v44
	v_dual_sub_f32 v45, v139, v45 :: v_dual_sub_f32 v44, v117, v44
	v_sub_f32_e32 v116, v122, v116
	v_sub_f32_e32 v117, v119, v120
	ds_store_2addr_b64 v108, v[24:25], v[32:33] offset1:6
	ds_store_2addr_b64 v108, v[87:88], v[26:27] offset0:12 offset1:18
	ds_store_2addr_b64 v108, v[46:47], v[91:92] offset0:24 offset1:30
	ds_store_2addr_b64 v110, v[28:29], v[111:112] offset1:6
	ds_store_2addr_b64 v110, v[34:35], v[30:31] offset0:12 offset1:18
	ds_store_2addr_b64 v110, v[116:117], v[44:45] offset0:24 offset1:30
	global_wb scope:SCOPE_SE
	s_wait_dscnt 0x0
	s_barrier_signal -1
	s_barrier_wait -1
	global_inv scope:SCOPE_SE
	ds_load_2addr_stride64_b64 v[28:31], v101 offset0:24 offset1:27
	ds_load_2addr_stride64_b64 v[24:27], v101 offset0:12 offset1:15
	;; [unrolled: 1-line block ×5, first 2 shown]
	ds_load_2addr_stride64_b64 v[124:127], v101 offset1:3
	v_mad_co_u64_u32 v[32:33], null, s6, v76, 0
	v_mad_co_u64_u32 v[34:35], null, s4, v102, 0
	global_wb scope:SCOPE_SE
	s_wait_dscnt 0x0
	s_barrier_signal -1
	s_barrier_wait -1
	global_inv scope:SCOPE_SE
	s_mul_i32 s6, s5, 0x1800
	v_dual_mul_f32 v110, v3, v45 :: v_dual_mul_f32 v87, v82, v31
	v_dual_mul_f32 v82, v82, v30 :: v_dual_mul_f32 v3, v3, v44
	v_mul_f32_e32 v111, v1, v119
	v_mul_f32_e32 v1, v1, v118
	;; [unrolled: 1-line block ×3, first 2 shown]
	v_dual_mul_f32 v5, v5, v24 :: v_dual_mul_f32 v108, v7, v47
	v_dual_mul_f32 v7, v7, v46 :: v_dual_mul_f32 v112, v80, v121
	v_mul_f32_e32 v80, v80, v120
	v_dual_mul_f32 v88, v9, v27 :: v_dual_mul_f32 v91, v11, v29
	v_mul_f32_e32 v11, v11, v28
	;; [unrolled: 2-line block ×3, first 2 shown]
	v_fmac_f32_e32 v87, v81, v30
	v_fma_f32 v30, v81, v31, -v82
	v_fmac_f32_e32 v110, v2, v44
	v_fma_f32 v2, v2, v45, -v3
	;; [unrolled: 2-line block ×9, first 2 shown]
	v_sub_f32_e32 v9, v124, v110
	v_dual_sub_f32 v11, v125, v2 :: v_dual_sub_f32 v2, v111, v87
	v_sub_f32_e32 v6, v0, v30
	v_dual_sub_f32 v24, v126, v108 :: v_dual_sub_f32 v25, v127, v5
	v_sub_f32_e32 v5, v92, v112
	v_sub_f32_e32 v7, v4, v1
	v_dual_sub_f32 v28, v116, v91 :: v_dual_sub_f32 v29, v117, v10
	v_sub_f32_e32 v10, v88, v128
	v_sub_f32_e32 v26, v8, v3
	v_fma_f32 v30, v124, 2.0, -v9
	v_fma_f32 v31, v125, 2.0, -v11
	;; [unrolled: 1-line block ×4, first 2 shown]
	v_add_f32_e32 v0, v9, v6
	v_sub_f32_e32 v1, v11, v2
	v_fma_f32 v45, v126, 2.0, -v24
	v_fma_f32 v46, v127, 2.0, -v25
	;; [unrolled: 1-line block ×8, first 2 shown]
	v_add_f32_e32 v2, v24, v7
	v_dual_sub_f32 v6, v30, v27 :: v_dual_sub_f32 v7, v31, v44
	v_sub_f32_e32 v3, v25, v5
	v_sub_f32_e32 v5, v29, v10
	v_fma_f32 v8, v9, 2.0, -v0
	v_fma_f32 v9, v11, 2.0, -v1
	v_dual_sub_f32 v10, v45, v47 :: v_dual_sub_f32 v11, v46, v77
	v_add_f32_e32 v4, v28, v26
	v_dual_sub_f32 v26, v78, v80 :: v_dual_sub_f32 v27, v79, v81
	v_fma_f32 v30, v30, 2.0, -v6
	v_fma_f32 v31, v31, 2.0, -v7
	v_fma_f32 v24, v24, 2.0, -v2
	v_fma_f32 v25, v25, 2.0, -v3
	v_fma_f32 v44, v45, 2.0, -v10
	v_fma_f32 v45, v46, 2.0, -v11
	v_fma_f32 v28, v28, 2.0, -v4
	v_fma_f32 v29, v29, 2.0, -v5
	v_fma_f32 v46, v78, 2.0, -v26
	v_fma_f32 v47, v79, 2.0, -v27
	ds_store_2addr_b64 v103, v[6:7], v[0:1] offset0:72 offset1:108
	ds_store_2addr_b64 v103, v[30:31], v[8:9] offset1:36
	ds_store_2addr_b64 v105, v[44:45], v[24:25] offset1:36
	ds_store_2addr_b64 v105, v[10:11], v[2:3] offset0:72 offset1:108
	ds_store_2addr_b64 v104, v[46:47], v[28:29] offset1:36
	ds_store_2addr_b64 v104, v[26:27], v[4:5] offset0:72 offset1:108
	v_mad_co_u64_u32 v[28:29], null, s7, v76, v[33:34]
	global_wb scope:SCOPE_SE
	s_wait_dscnt 0x0
	s_barrier_signal -1
	s_barrier_wait -1
	global_inv scope:SCOPE_SE
	ds_load_2addr_stride64_b64 v[0:3], v101 offset0:6 offset1:9
	ds_load_2addr_stride64_b64 v[4:7], v101 offset0:18 offset1:21
	;; [unrolled: 1-line block ×4, first 2 shown]
	v_mov_b32_e32 v33, v28
	ds_load_2addr_stride64_b64 v[28:31], v101 offset0:30 offset1:33
	v_mad_co_u64_u32 v[44:45], null, s5, v102, v[35:36]
	v_lshlrev_b64_e32 v[76:77], 3, v[32:33]
	s_delay_alu instid0(VALU_DEP_2)
	v_mov_b32_e32 v35, v44
	ds_load_2addr_stride64_b64 v[44:47], v101 offset1:3
	global_wb scope:SCOPE_SE
	s_wait_dscnt 0x0
	s_barrier_signal -1
	s_barrier_wait -1
	global_inv scope:SCOPE_SE
	v_mul_f32_e32 v32, v49, v3
	v_mul_f32_e32 v33, v49, v2
	;; [unrolled: 1-line block ×3, first 2 shown]
	v_dual_mul_f32 v51, v51, v4 :: v_dual_mul_f32 v78, v98, v11
	v_dual_mul_f32 v79, v98, v10 :: v_dual_mul_f32 v80, v41, v25
	v_mul_f32_e32 v41, v41, v24
	v_mul_f32_e32 v81, v43, v7
	v_dual_mul_f32 v43, v43, v6 :: v_dual_mul_f32 v82, v96, v29
	v_dual_mul_f32 v87, v96, v28 :: v_dual_mul_f32 v88, v37, v27
	v_mul_f32_e32 v37, v37, v26
	v_mul_f32_e32 v91, v39, v9
	v_dual_mul_f32 v39, v39, v8 :: v_dual_mul_f32 v92, v94, v31
	v_mul_f32_e32 v94, v94, v30
	v_fmac_f32_e32 v32, v48, v2
	v_fma_f32 v2, v48, v3, -v33
	v_fmac_f32_e32 v49, v50, v4
	v_fma_f32 v3, v50, v5, -v51
	;; [unrolled: 2-line block ×9, first 2 shown]
	v_dual_sub_f32 v11, v44, v49 :: v_dual_sub_f32 v24, v45, v3
	v_dual_sub_f32 v3, v32, v78 :: v_dual_sub_f32 v4, v2, v4
	;; [unrolled: 1-line block ×6, first 2 shown]
	v_fma_f32 v30, v44, 2.0, -v11
	v_fma_f32 v31, v45, 2.0, -v24
	;; [unrolled: 1-line block ×4, first 2 shown]
	v_add_f32_e32 v2, v11, v4
	v_fma_f32 v33, v46, 2.0, -v25
	v_fma_f32 v36, v47, 2.0, -v26
	;; [unrolled: 1-line block ×4, first 2 shown]
	v_sub_f32_e32 v3, v24, v3
	v_dual_add_f32 v4, v25, v7 :: v_dual_sub_f32 v5, v26, v6
	v_fma_f32 v39, v0, 2.0, -v28
	v_fma_f32 v40, v1, 2.0, -v29
	;; [unrolled: 1-line block ×4, first 2 shown]
	v_dual_sub_f32 v6, v30, v27 :: v_dual_sub_f32 v7, v31, v32
	v_sub_f32_e32 v1, v29, v8
	v_fma_f32 v8, v11, 2.0, -v2
	v_dual_sub_f32 v10, v33, v37 :: v_dual_sub_f32 v11, v36, v38
	v_add_f32_e32 v0, v28, v9
	v_fma_f32 v9, v24, 2.0, -v3
	v_fma_f32 v24, v25, 2.0, -v4
	;; [unrolled: 1-line block ×3, first 2 shown]
	v_dual_sub_f32 v26, v39, v41 :: v_dual_sub_f32 v27, v40, v42
	v_fma_f32 v30, v30, 2.0, -v6
	v_fma_f32 v31, v31, 2.0, -v7
	;; [unrolled: 1-line block ×8, first 2 shown]
	ds_store_2addr_b64 v115, v[6:7], v[2:3] offset0:32 offset1:176
	ds_store_2addr_b64 v106, v[30:31], v[8:9] offset1:144
	ds_store_2addr_b64 v109, v[32:33], v[24:25] offset1:144
	ds_store_2addr_b64 v113, v[10:11], v[4:5] offset0:32 offset1:176
	ds_store_2addr_b64 v107, v[36:37], v[28:29] offset1:144
	ds_store_2addr_b64 v114, v[26:27], v[0:1] offset0:32 offset1:176
	global_wb scope:SCOPE_SE
	s_wait_dscnt 0x0
	s_barrier_signal -1
	s_barrier_wait -1
	global_inv scope:SCOPE_SE
	ds_load_2addr_stride64_b64 v[6:9], v101 offset0:6 offset1:9
	v_lshlrev_b64_e32 v[0:1], 3, v[34:35]
	ds_load_2addr_stride64_b64 v[24:27], v101 offset0:18 offset1:21
	ds_load_2addr_stride64_b64 v[28:31], v101 offset0:24 offset1:27
	;; [unrolled: 1-line block ×4, first 2 shown]
	ds_load_2addr_stride64_b64 v[40:43], v101 offset1:3
	v_add_co_u32 v4, vcc_lo, s0, v76
	s_wait_alu 0xfffd
	v_add_co_ci_u32_e32 v5, vcc_lo, s1, v77, vcc_lo
	s_mul_u64 s[0:1], s[4:5], 0xc00
	s_delay_alu instid0(VALU_DEP_2) | instskip(SKIP_1) | instid1(VALU_DEP_2)
	v_add_co_u32 v0, vcc_lo, v4, v0
	s_wait_alu 0xfffd
	v_add_co_ci_u32_e32 v1, vcc_lo, v5, v1, vcc_lo
	s_wait_alu 0xfffe
	s_delay_alu instid0(VALU_DEP_2) | instskip(SKIP_1) | instid1(VALU_DEP_2)
	v_add_co_u32 v2, vcc_lo, v0, s0
	s_wait_alu 0xfffd
	v_add_co_ci_u32_e32 v3, vcc_lo, s1, v1, vcc_lo
	s_wait_dscnt 0x5
	v_mul_f32_e32 v10, v13, v9
	v_mul_f32_e32 v11, v13, v8
	s_wait_dscnt 0x4
	v_mul_f32_e32 v13, v15, v25
	s_wait_dscnt 0x3
	v_dual_mul_f32 v15, v15, v24 :: v_dual_mul_f32 v44, v84, v31
	s_wait_dscnt 0x2
	v_dual_mul_f32 v45, v84, v30 :: v_dual_mul_f32 v46, v17, v33
	v_mul_f32_e32 v17, v17, v32
	v_mul_f32_e32 v47, v19, v27
	s_wait_dscnt 0x1
	v_dual_mul_f32 v19, v19, v26 :: v_dual_mul_f32 v48, v90, v37
	v_dual_mul_f32 v49, v90, v36 :: v_dual_mul_f32 v50, v21, v35
	v_mul_f32_e32 v21, v21, v34
	v_mul_f32_e32 v51, v23, v29
	v_dual_mul_f32 v23, v23, v28 :: v_dual_mul_f32 v76, v86, v39
	v_dual_mul_f32 v77, v86, v38 :: v_dual_fmac_f32 v10, v12, v8
	v_fma_f32 v8, v12, v9, -v11
	v_fmac_f32_e32 v13, v14, v24
	v_fma_f32 v9, v14, v25, -v15
	v_fmac_f32_e32 v44, v83, v30
	;; [unrolled: 2-line block ×8, first 2 shown]
	v_fma_f32 v18, v85, v39, -v77
	s_wait_dscnt 0x0
	v_sub_f32_e32 v19, v40, v13
	v_dual_sub_f32 v20, v41, v9 :: v_dual_sub_f32 v9, v10, v44
	v_sub_f32_e32 v11, v8, v11
	v_dual_sub_f32 v21, v42, v47 :: v_dual_sub_f32 v22, v43, v14
	v_dual_sub_f32 v13, v46, v48 :: v_dual_sub_f32 v14, v12, v15
	;; [unrolled: 1-line block ×3, first 2 shown]
	v_sub_f32_e32 v15, v50, v76
	v_sub_f32_e32 v17, v16, v18
	v_fma_f32 v25, v40, 2.0, -v19
	v_fma_f32 v26, v41, 2.0, -v20
	;; [unrolled: 1-line block ×8, first 2 shown]
	v_dual_sub_f32 v9, v20, v9 :: v_dual_add_f32 v10, v21, v14
	v_fma_f32 v32, v6, 2.0, -v23
	v_fma_f32 v33, v7, 2.0, -v24
	;; [unrolled: 1-line block ×4, first 2 shown]
	v_dual_add_f32 v8, v19, v11 :: v_dual_sub_f32 v11, v22, v13
	v_dual_add_f32 v6, v23, v17 :: v_dual_sub_f32 v7, v24, v15
	v_dual_sub_f32 v12, v25, v18 :: v_dual_sub_f32 v13, v26, v27
	v_dual_sub_f32 v16, v28, v30 :: v_dual_sub_f32 v17, v29, v31
	v_fma_f32 v15, v20, 2.0, -v9
	v_fma_f32 v18, v21, 2.0, -v10
	v_dual_sub_f32 v20, v32, v34 :: v_dual_sub_f32 v21, v33, v35
	v_fma_f32 v14, v19, 2.0, -v8
	v_fma_f32 v19, v22, 2.0, -v11
	;; [unrolled: 1-line block ×10, first 2 shown]
	ds_store_b64 v101, v[14:15] offset:4608
	ds_store_b64 v101, v[8:9] offset:13824
	;; [unrolled: 1-line block ×3, first 2 shown]
	ds_store_2addr_stride64_b64 v101, v[24:25], v[26:27] offset1:3
	ds_store_b64 v101, v[28:29] offset:3072
	ds_store_b64 v101, v[10:11] offset:15360
	ds_store_2addr_stride64_b64 v101, v[18:19], v[22:23] offset0:12 offset1:15
	ds_store_2addr_stride64_b64 v101, v[16:17], v[20:21] offset0:21 offset1:24
	ds_store_b64 v101, v[6:7] offset:16896
	global_wb scope:SCOPE_SE
	s_wait_dscnt 0x0
	s_barrier_signal -1
	s_barrier_wait -1
	global_inv scope:SCOPE_SE
	ds_load_2addr_stride64_b64 v[6:9], v101 offset1:3
	ds_load_2addr_stride64_b64 v[10:13], v101 offset0:6 offset1:9
	ds_load_2addr_stride64_b64 v[14:17], v101 offset0:12 offset1:15
	;; [unrolled: 1-line block ×5, first 2 shown]
	v_mad_co_u64_u32 v[30:31], null, 0x1800, s4, v[2:3]
	v_mad_co_u64_u32 v[32:33], null, s4, v100, 0
	s_delay_alu instid0(VALU_DEP_2) | instskip(NEXT) | instid1(VALU_DEP_1)
	v_add_nc_u32_e32 v31, s6, v31
	v_mad_co_u64_u32 v[34:35], null, 0x1800, s4, v[30:31]
	s_wait_dscnt 0x5
	v_mul_f32_e32 v36, v53, v7
	v_mul_f32_e32 v37, v53, v6
	s_wait_dscnt 0x4
	v_mul_f32_e32 v38, v61, v11
	s_wait_dscnt 0x3
	v_dual_mul_f32 v39, v61, v10 :: v_dual_mul_f32 v40, v55, v15
	s_wait_dscnt 0x2
	v_dual_mul_f32 v41, v55, v14 :: v_dual_mul_f32 v42, v69, v19
	v_mul_f32_e32 v43, v69, v18
	s_wait_dscnt 0x1
	v_mul_f32_e32 v44, v57, v23
	s_wait_dscnt 0x0
	v_dual_mul_f32 v45, v57, v22 :: v_dual_mul_f32 v46, v59, v27
	v_dual_mul_f32 v47, v59, v26 :: v_dual_mul_f32 v48, v65, v9
	v_dual_mul_f32 v49, v65, v8 :: v_dual_fmac_f32 v36, v52, v6
	v_fma_f32 v37, v52, v7, -v37
	v_mul_f32_e32 v50, v63, v13
	s_delay_alu instid0(VALU_DEP_4)
	v_fmac_f32_e32 v48, v64, v8
	v_dual_mul_f32 v51, v63, v12 :: v_dual_fmac_f32 v38, v60, v10
	v_fma_f32 v39, v60, v11, -v39
	v_mul_f32_e32 v53, v71, v17
	v_dual_mul_f32 v55, v71, v16 :: v_dual_fmac_f32 v40, v54, v14
	v_fma_f32 v41, v54, v15, -v41
	v_mul_f32_e32 v57, v67, v21
	;; [unrolled: 3-line block ×4, first 2 shown]
	v_dual_mul_f32 v67, v73, v28 :: v_dual_fmac_f32 v46, v58, v26
	v_fma_f32 v47, v58, v27, -v47
	v_fma_f32 v49, v64, v9, -v49
	v_cvt_f64_f32_e32 v[6:7], v36
	v_cvt_f64_f32_e32 v[8:9], v37
	v_fmac_f32_e32 v50, v62, v12
	v_fma_f32 v51, v62, v13, -v51
	v_cvt_f64_f32_e32 v[10:11], v38
	v_cvt_f64_f32_e32 v[12:13], v39
	v_fmac_f32_e32 v53, v70, v16
	;; [unrolled: 4-line block ×5, first 2 shown]
	v_fma_f32 v58, v72, v29, -v67
	v_cvt_f64_f32_e32 v[26:27], v46
	v_cvt_f64_f32_e32 v[28:29], v47
	;; [unrolled: 1-line block ×14, first 2 shown]
	v_mad_co_u64_u32 v[60:61], null, s4, v99, 0
	v_add_nc_u32_e32 v35, s6, v35
	v_mad_co_u64_u32 v[62:63], null, s5, v100, v[33:34]
	v_mul_f64_e32 v[6:7], s[2:3], v[6:7]
	v_mul_f64_e32 v[8:9], s[2:3], v[8:9]
	s_delay_alu instid0(VALU_DEP_4)
	v_mad_co_u64_u32 v[63:64], null, 0xffffca00, s4, v[34:35]
	v_mul_f64_e32 v[10:11], s[2:3], v[10:11]
	v_mul_f64_e32 v[12:13], s[2:3], v[12:13]
	v_mad_co_u64_u32 v[65:66], null, s5, v99, v[61:62]
	v_mul_f64_e32 v[14:15], s[2:3], v[14:15]
	v_mul_f64_e32 v[16:17], s[2:3], v[16:17]
	v_mov_b32_e32 v33, v62
	v_mul_f64_e32 v[18:19], s[2:3], v[18:19]
	v_mul_f64_e32 v[20:21], s[2:3], v[20:21]
	v_mov_b32_e32 v61, v65
	v_mul_f64_e32 v[22:23], s[2:3], v[22:23]
	v_mul_f64_e32 v[24:25], s[2:3], v[24:25]
	v_add_co_u32 v65, vcc_lo, v63, s0
	v_mul_f64_e32 v[26:27], s[2:3], v[26:27]
	v_mul_f64_e32 v[28:29], s[2:3], v[28:29]
	;; [unrolled: 1-line block ×14, first 2 shown]
	s_mul_i32 s2, s5, 0xffffca00
	v_lshlrev_b64_e32 v[32:33], 3, v[32:33]
	s_wait_alu 0xfffe
	s_sub_co_i32 s2, s2, s4
	s_wait_alu 0xfffe
	v_add_nc_u32_e32 v64, s2, v64
	v_cvt_f32_f64_e32 v6, v[6:7]
	v_cvt_f32_f64_e32 v7, v[8:9]
	;; [unrolled: 1-line block ×4, first 2 shown]
	s_wait_alu 0xfffd
	v_add_co_ci_u32_e32 v66, vcc_lo, s1, v64, vcc_lo
	v_cvt_f32_f64_e32 v10, v[14:15]
	v_cvt_f32_f64_e32 v11, v[16:17]
	;; [unrolled: 1-line block ×20, first 2 shown]
	v_add_co_u32 v36, vcc_lo, v65, s0
	s_wait_alu 0xfffd
	v_add_co_ci_u32_e32 v37, vcc_lo, s1, v66, vcc_lo
	v_lshlrev_b64_e32 v[38:39], 3, v[60:61]
	s_delay_alu instid0(VALU_DEP_3) | instskip(SKIP_1) | instid1(VALU_DEP_3)
	v_add_co_u32 v40, vcc_lo, v36, s0
	s_wait_alu 0xfffd
	v_add_co_ci_u32_e32 v41, vcc_lo, s1, v37, vcc_lo
	v_add_co_u32 v32, vcc_lo, v4, v32
	s_wait_alu 0xfffd
	v_add_co_ci_u32_e32 v33, vcc_lo, v5, v33, vcc_lo
	;; [unrolled: 3-line block ×5, first 2 shown]
	s_clause 0x6
	global_store_b64 v[0:1], v[6:7], off
	global_store_b64 v[2:3], v[8:9], off
	;; [unrolled: 1-line block ×12, first 2 shown]
.LBB0_2:
	s_nop 0
	s_sendmsg sendmsg(MSG_DEALLOC_VGPRS)
	s_endpgm
	.section	.rodata,"a",@progbits
	.p2align	6, 0x0
	.amdhsa_kernel bluestein_single_fwd_len2304_dim1_sp_op_CI_CI
		.amdhsa_group_segment_fixed_size 18432
		.amdhsa_private_segment_fixed_size 0
		.amdhsa_kernarg_size 104
		.amdhsa_user_sgpr_count 2
		.amdhsa_user_sgpr_dispatch_ptr 0
		.amdhsa_user_sgpr_queue_ptr 0
		.amdhsa_user_sgpr_kernarg_segment_ptr 1
		.amdhsa_user_sgpr_dispatch_id 0
		.amdhsa_user_sgpr_private_segment_size 0
		.amdhsa_wavefront_size32 1
		.amdhsa_uses_dynamic_stack 0
		.amdhsa_enable_private_segment 0
		.amdhsa_system_sgpr_workgroup_id_x 1
		.amdhsa_system_sgpr_workgroup_id_y 0
		.amdhsa_system_sgpr_workgroup_id_z 0
		.amdhsa_system_sgpr_workgroup_info 0
		.amdhsa_system_vgpr_workitem_id 0
		.amdhsa_next_free_vgpr 161
		.amdhsa_next_free_sgpr 20
		.amdhsa_reserve_vcc 1
		.amdhsa_float_round_mode_32 0
		.amdhsa_float_round_mode_16_64 0
		.amdhsa_float_denorm_mode_32 3
		.amdhsa_float_denorm_mode_16_64 3
		.amdhsa_fp16_overflow 0
		.amdhsa_workgroup_processor_mode 1
		.amdhsa_memory_ordered 1
		.amdhsa_forward_progress 0
		.amdhsa_round_robin_scheduling 0
		.amdhsa_exception_fp_ieee_invalid_op 0
		.amdhsa_exception_fp_denorm_src 0
		.amdhsa_exception_fp_ieee_div_zero 0
		.amdhsa_exception_fp_ieee_overflow 0
		.amdhsa_exception_fp_ieee_underflow 0
		.amdhsa_exception_fp_ieee_inexact 0
		.amdhsa_exception_int_div_zero 0
	.end_amdhsa_kernel
	.text
.Lfunc_end0:
	.size	bluestein_single_fwd_len2304_dim1_sp_op_CI_CI, .Lfunc_end0-bluestein_single_fwd_len2304_dim1_sp_op_CI_CI
                                        ; -- End function
	.section	.AMDGPU.csdata,"",@progbits
; Kernel info:
; codeLenInByte = 11172
; NumSgprs: 22
; NumVgprs: 161
; ScratchSize: 0
; MemoryBound: 0
; FloatMode: 240
; IeeeMode: 1
; LDSByteSize: 18432 bytes/workgroup (compile time only)
; SGPRBlocks: 2
; VGPRBlocks: 20
; NumSGPRsForWavesPerEU: 22
; NumVGPRsForWavesPerEU: 161
; Occupancy: 9
; WaveLimiterHint : 1
; COMPUTE_PGM_RSRC2:SCRATCH_EN: 0
; COMPUTE_PGM_RSRC2:USER_SGPR: 2
; COMPUTE_PGM_RSRC2:TRAP_HANDLER: 0
; COMPUTE_PGM_RSRC2:TGID_X_EN: 1
; COMPUTE_PGM_RSRC2:TGID_Y_EN: 0
; COMPUTE_PGM_RSRC2:TGID_Z_EN: 0
; COMPUTE_PGM_RSRC2:TIDIG_COMP_CNT: 0
	.text
	.p2alignl 7, 3214868480
	.fill 96, 4, 3214868480
	.type	__hip_cuid_c47621f822c13a9e,@object ; @__hip_cuid_c47621f822c13a9e
	.section	.bss,"aw",@nobits
	.globl	__hip_cuid_c47621f822c13a9e
__hip_cuid_c47621f822c13a9e:
	.byte	0                               ; 0x0
	.size	__hip_cuid_c47621f822c13a9e, 1

	.ident	"AMD clang version 19.0.0git (https://github.com/RadeonOpenCompute/llvm-project roc-6.4.0 25133 c7fe45cf4b819c5991fe208aaa96edf142730f1d)"
	.section	".note.GNU-stack","",@progbits
	.addrsig
	.addrsig_sym __hip_cuid_c47621f822c13a9e
	.amdgpu_metadata
---
amdhsa.kernels:
  - .args:
      - .actual_access:  read_only
        .address_space:  global
        .offset:         0
        .size:           8
        .value_kind:     global_buffer
      - .actual_access:  read_only
        .address_space:  global
        .offset:         8
        .size:           8
        .value_kind:     global_buffer
      - .actual_access:  read_only
        .address_space:  global
        .offset:         16
        .size:           8
        .value_kind:     global_buffer
      - .actual_access:  read_only
        .address_space:  global
        .offset:         24
        .size:           8
        .value_kind:     global_buffer
      - .actual_access:  read_only
        .address_space:  global
        .offset:         32
        .size:           8
        .value_kind:     global_buffer
      - .offset:         40
        .size:           8
        .value_kind:     by_value
      - .address_space:  global
        .offset:         48
        .size:           8
        .value_kind:     global_buffer
      - .address_space:  global
        .offset:         56
        .size:           8
        .value_kind:     global_buffer
      - .address_space:  global
        .offset:         64
        .size:           8
        .value_kind:     global_buffer
      - .address_space:  global
        .offset:         72
        .size:           8
        .value_kind:     global_buffer
      - .offset:         80
        .size:           4
        .value_kind:     by_value
      - .address_space:  global
        .offset:         88
        .size:           8
        .value_kind:     global_buffer
      - .address_space:  global
        .offset:         96
        .size:           8
        .value_kind:     global_buffer
    .group_segment_fixed_size: 18432
    .kernarg_segment_align: 8
    .kernarg_segment_size: 104
    .language:       OpenCL C
    .language_version:
      - 2
      - 0
    .max_flat_workgroup_size: 192
    .name:           bluestein_single_fwd_len2304_dim1_sp_op_CI_CI
    .private_segment_fixed_size: 0
    .sgpr_count:     22
    .sgpr_spill_count: 0
    .symbol:         bluestein_single_fwd_len2304_dim1_sp_op_CI_CI.kd
    .uniform_work_group_size: 1
    .uses_dynamic_stack: false
    .vgpr_count:     161
    .vgpr_spill_count: 0
    .wavefront_size: 32
    .workgroup_processor_mode: 1
amdhsa.target:   amdgcn-amd-amdhsa--gfx1201
amdhsa.version:
  - 1
  - 2
...

	.end_amdgpu_metadata
